;; amdgpu-corpus repo=ROCm/rocFFT kind=compiled arch=gfx1100 opt=O3
	.text
	.amdgcn_target "amdgcn-amd-amdhsa--gfx1100"
	.amdhsa_code_object_version 6
	.protected	fft_rtc_back_len3200_factors_10_10_4_4_2_wgs_160_tpt_160_halfLds_half_ip_CI_unitstride_sbrr_C2R_dirReg ; -- Begin function fft_rtc_back_len3200_factors_10_10_4_4_2_wgs_160_tpt_160_halfLds_half_ip_CI_unitstride_sbrr_C2R_dirReg
	.globl	fft_rtc_back_len3200_factors_10_10_4_4_2_wgs_160_tpt_160_halfLds_half_ip_CI_unitstride_sbrr_C2R_dirReg
	.p2align	8
	.type	fft_rtc_back_len3200_factors_10_10_4_4_2_wgs_160_tpt_160_halfLds_half_ip_CI_unitstride_sbrr_C2R_dirReg,@function
fft_rtc_back_len3200_factors_10_10_4_4_2_wgs_160_tpt_160_halfLds_half_ip_CI_unitstride_sbrr_C2R_dirReg: ; @fft_rtc_back_len3200_factors_10_10_4_4_2_wgs_160_tpt_160_halfLds_half_ip_CI_unitstride_sbrr_C2R_dirReg
; %bb.0:
	s_clause 0x2
	s_load_b128 s[4:7], s[0:1], 0x0
	s_load_b64 s[8:9], s[0:1], 0x50
	s_load_b64 s[10:11], s[0:1], 0x18
	v_mul_u32_u24_e32 v1, 0x19a, v0
	v_mov_b32_e32 v3, 0
	v_mov_b32_e32 v4, 0
	s_delay_alu instid0(VALU_DEP_3) | instskip(SKIP_1) | instid1(VALU_DEP_1)
	v_lshrrev_b32_e32 v2, 16, v1
	v_mov_b32_e32 v1, 0
	v_dual_mov_b32 v6, v1 :: v_dual_add_nc_u32 v5, s15, v2
	s_waitcnt lgkmcnt(0)
	v_cmp_lt_u64_e64 s2, s[6:7], 2
	s_delay_alu instid0(VALU_DEP_1)
	s_and_b32 vcc_lo, exec_lo, s2
	s_cbranch_vccnz .LBB0_8
; %bb.1:
	s_load_b64 s[2:3], s[0:1], 0x10
	v_mov_b32_e32 v3, 0
	s_add_u32 s12, s10, 8
	v_mov_b32_e32 v4, 0
	s_addc_u32 s13, s11, 0
	s_mov_b64 s[16:17], 1
	s_waitcnt lgkmcnt(0)
	s_add_u32 s14, s2, 8
	s_addc_u32 s15, s3, 0
.LBB0_2:                                ; =>This Inner Loop Header: Depth=1
	s_load_b64 s[18:19], s[14:15], 0x0
                                        ; implicit-def: $vgpr7_vgpr8
	s_mov_b32 s2, exec_lo
	s_waitcnt lgkmcnt(0)
	v_or_b32_e32 v2, s19, v6
	s_delay_alu instid0(VALU_DEP_1)
	v_cmpx_ne_u64_e32 0, v[1:2]
	s_xor_b32 s3, exec_lo, s2
	s_cbranch_execz .LBB0_4
; %bb.3:                                ;   in Loop: Header=BB0_2 Depth=1
	v_cvt_f32_u32_e32 v2, s18
	v_cvt_f32_u32_e32 v7, s19
	s_sub_u32 s2, 0, s18
	s_subb_u32 s20, 0, s19
	s_delay_alu instid0(VALU_DEP_1) | instskip(NEXT) | instid1(VALU_DEP_1)
	v_fmac_f32_e32 v2, 0x4f800000, v7
	v_rcp_f32_e32 v2, v2
	s_waitcnt_depctr 0xfff
	v_mul_f32_e32 v2, 0x5f7ffffc, v2
	s_delay_alu instid0(VALU_DEP_1) | instskip(NEXT) | instid1(VALU_DEP_1)
	v_mul_f32_e32 v7, 0x2f800000, v2
	v_trunc_f32_e32 v7, v7
	s_delay_alu instid0(VALU_DEP_1) | instskip(SKIP_1) | instid1(VALU_DEP_2)
	v_fmac_f32_e32 v2, 0xcf800000, v7
	v_cvt_u32_f32_e32 v7, v7
	v_cvt_u32_f32_e32 v2, v2
	s_delay_alu instid0(VALU_DEP_2) | instskip(NEXT) | instid1(VALU_DEP_2)
	v_mul_lo_u32 v8, s2, v7
	v_mul_hi_u32 v9, s2, v2
	v_mul_lo_u32 v10, s20, v2
	s_delay_alu instid0(VALU_DEP_2) | instskip(SKIP_1) | instid1(VALU_DEP_2)
	v_add_nc_u32_e32 v8, v9, v8
	v_mul_lo_u32 v9, s2, v2
	v_add_nc_u32_e32 v8, v8, v10
	s_delay_alu instid0(VALU_DEP_2) | instskip(NEXT) | instid1(VALU_DEP_2)
	v_mul_hi_u32 v10, v2, v9
	v_mul_lo_u32 v11, v2, v8
	v_mul_hi_u32 v12, v2, v8
	v_mul_hi_u32 v13, v7, v9
	v_mul_lo_u32 v9, v7, v9
	v_mul_hi_u32 v14, v7, v8
	v_mul_lo_u32 v8, v7, v8
	v_add_co_u32 v10, vcc_lo, v10, v11
	v_add_co_ci_u32_e32 v11, vcc_lo, 0, v12, vcc_lo
	s_delay_alu instid0(VALU_DEP_2) | instskip(NEXT) | instid1(VALU_DEP_2)
	v_add_co_u32 v9, vcc_lo, v10, v9
	v_add_co_ci_u32_e32 v9, vcc_lo, v11, v13, vcc_lo
	v_add_co_ci_u32_e32 v10, vcc_lo, 0, v14, vcc_lo
	s_delay_alu instid0(VALU_DEP_2) | instskip(NEXT) | instid1(VALU_DEP_2)
	v_add_co_u32 v8, vcc_lo, v9, v8
	v_add_co_ci_u32_e32 v9, vcc_lo, 0, v10, vcc_lo
	s_delay_alu instid0(VALU_DEP_2) | instskip(NEXT) | instid1(VALU_DEP_2)
	v_add_co_u32 v2, vcc_lo, v2, v8
	v_add_co_ci_u32_e32 v7, vcc_lo, v7, v9, vcc_lo
	s_delay_alu instid0(VALU_DEP_2) | instskip(SKIP_1) | instid1(VALU_DEP_3)
	v_mul_hi_u32 v8, s2, v2
	v_mul_lo_u32 v10, s20, v2
	v_mul_lo_u32 v9, s2, v7
	s_delay_alu instid0(VALU_DEP_1) | instskip(SKIP_1) | instid1(VALU_DEP_2)
	v_add_nc_u32_e32 v8, v8, v9
	v_mul_lo_u32 v9, s2, v2
	v_add_nc_u32_e32 v8, v8, v10
	s_delay_alu instid0(VALU_DEP_2) | instskip(NEXT) | instid1(VALU_DEP_2)
	v_mul_hi_u32 v10, v2, v9
	v_mul_lo_u32 v11, v2, v8
	v_mul_hi_u32 v12, v2, v8
	v_mul_hi_u32 v13, v7, v9
	v_mul_lo_u32 v9, v7, v9
	v_mul_hi_u32 v14, v7, v8
	v_mul_lo_u32 v8, v7, v8
	v_add_co_u32 v10, vcc_lo, v10, v11
	v_add_co_ci_u32_e32 v11, vcc_lo, 0, v12, vcc_lo
	s_delay_alu instid0(VALU_DEP_2) | instskip(NEXT) | instid1(VALU_DEP_2)
	v_add_co_u32 v9, vcc_lo, v10, v9
	v_add_co_ci_u32_e32 v9, vcc_lo, v11, v13, vcc_lo
	v_add_co_ci_u32_e32 v10, vcc_lo, 0, v14, vcc_lo
	s_delay_alu instid0(VALU_DEP_2) | instskip(NEXT) | instid1(VALU_DEP_2)
	v_add_co_u32 v8, vcc_lo, v9, v8
	v_add_co_ci_u32_e32 v9, vcc_lo, 0, v10, vcc_lo
	s_delay_alu instid0(VALU_DEP_2) | instskip(NEXT) | instid1(VALU_DEP_2)
	v_add_co_u32 v2, vcc_lo, v2, v8
	v_add_co_ci_u32_e32 v13, vcc_lo, v7, v9, vcc_lo
	s_delay_alu instid0(VALU_DEP_2) | instskip(SKIP_1) | instid1(VALU_DEP_3)
	v_mul_hi_u32 v14, v5, v2
	v_mad_u64_u32 v[9:10], null, v6, v2, 0
	v_mad_u64_u32 v[7:8], null, v5, v13, 0
	;; [unrolled: 1-line block ×3, first 2 shown]
	s_delay_alu instid0(VALU_DEP_2) | instskip(NEXT) | instid1(VALU_DEP_3)
	v_add_co_u32 v2, vcc_lo, v14, v7
	v_add_co_ci_u32_e32 v7, vcc_lo, 0, v8, vcc_lo
	s_delay_alu instid0(VALU_DEP_2) | instskip(NEXT) | instid1(VALU_DEP_2)
	v_add_co_u32 v2, vcc_lo, v2, v9
	v_add_co_ci_u32_e32 v2, vcc_lo, v7, v10, vcc_lo
	v_add_co_ci_u32_e32 v7, vcc_lo, 0, v12, vcc_lo
	s_delay_alu instid0(VALU_DEP_2) | instskip(NEXT) | instid1(VALU_DEP_2)
	v_add_co_u32 v2, vcc_lo, v2, v11
	v_add_co_ci_u32_e32 v9, vcc_lo, 0, v7, vcc_lo
	s_delay_alu instid0(VALU_DEP_2) | instskip(SKIP_1) | instid1(VALU_DEP_3)
	v_mul_lo_u32 v10, s19, v2
	v_mad_u64_u32 v[7:8], null, s18, v2, 0
	v_mul_lo_u32 v11, s18, v9
	s_delay_alu instid0(VALU_DEP_2) | instskip(NEXT) | instid1(VALU_DEP_2)
	v_sub_co_u32 v7, vcc_lo, v5, v7
	v_add3_u32 v8, v8, v11, v10
	s_delay_alu instid0(VALU_DEP_1) | instskip(NEXT) | instid1(VALU_DEP_1)
	v_sub_nc_u32_e32 v10, v6, v8
	v_subrev_co_ci_u32_e64 v10, s2, s19, v10, vcc_lo
	v_add_co_u32 v11, s2, v2, 2
	s_delay_alu instid0(VALU_DEP_1) | instskip(SKIP_3) | instid1(VALU_DEP_3)
	v_add_co_ci_u32_e64 v12, s2, 0, v9, s2
	v_sub_co_u32 v13, s2, v7, s18
	v_sub_co_ci_u32_e32 v8, vcc_lo, v6, v8, vcc_lo
	v_subrev_co_ci_u32_e64 v10, s2, 0, v10, s2
	v_cmp_le_u32_e32 vcc_lo, s18, v13
	s_delay_alu instid0(VALU_DEP_3) | instskip(SKIP_1) | instid1(VALU_DEP_4)
	v_cmp_eq_u32_e64 s2, s19, v8
	v_cndmask_b32_e64 v13, 0, -1, vcc_lo
	v_cmp_le_u32_e32 vcc_lo, s19, v10
	v_cndmask_b32_e64 v14, 0, -1, vcc_lo
	v_cmp_le_u32_e32 vcc_lo, s18, v7
	;; [unrolled: 2-line block ×3, first 2 shown]
	v_cndmask_b32_e64 v15, 0, -1, vcc_lo
	v_cmp_eq_u32_e32 vcc_lo, s19, v10
	s_delay_alu instid0(VALU_DEP_2) | instskip(SKIP_3) | instid1(VALU_DEP_3)
	v_cndmask_b32_e64 v7, v15, v7, s2
	v_cndmask_b32_e32 v10, v14, v13, vcc_lo
	v_add_co_u32 v13, vcc_lo, v2, 1
	v_add_co_ci_u32_e32 v14, vcc_lo, 0, v9, vcc_lo
	v_cmp_ne_u32_e32 vcc_lo, 0, v10
	s_delay_alu instid0(VALU_DEP_2) | instskip(NEXT) | instid1(VALU_DEP_4)
	v_cndmask_b32_e32 v8, v14, v12, vcc_lo
	v_cndmask_b32_e32 v10, v13, v11, vcc_lo
	v_cmp_ne_u32_e32 vcc_lo, 0, v7
	s_delay_alu instid0(VALU_DEP_2)
	v_dual_cndmask_b32 v7, v2, v10 :: v_dual_cndmask_b32 v8, v9, v8
.LBB0_4:                                ;   in Loop: Header=BB0_2 Depth=1
	s_and_not1_saveexec_b32 s2, s3
	s_cbranch_execz .LBB0_6
; %bb.5:                                ;   in Loop: Header=BB0_2 Depth=1
	v_cvt_f32_u32_e32 v2, s18
	s_sub_i32 s3, 0, s18
	s_delay_alu instid0(VALU_DEP_1) | instskip(SKIP_2) | instid1(VALU_DEP_1)
	v_rcp_iflag_f32_e32 v2, v2
	s_waitcnt_depctr 0xfff
	v_mul_f32_e32 v2, 0x4f7ffffe, v2
	v_cvt_u32_f32_e32 v2, v2
	s_delay_alu instid0(VALU_DEP_1) | instskip(NEXT) | instid1(VALU_DEP_1)
	v_mul_lo_u32 v7, s3, v2
	v_mul_hi_u32 v7, v2, v7
	s_delay_alu instid0(VALU_DEP_1) | instskip(NEXT) | instid1(VALU_DEP_1)
	v_add_nc_u32_e32 v2, v2, v7
	v_mul_hi_u32 v2, v5, v2
	s_delay_alu instid0(VALU_DEP_1) | instskip(SKIP_1) | instid1(VALU_DEP_2)
	v_mul_lo_u32 v7, v2, s18
	v_add_nc_u32_e32 v8, 1, v2
	v_sub_nc_u32_e32 v7, v5, v7
	s_delay_alu instid0(VALU_DEP_1) | instskip(SKIP_1) | instid1(VALU_DEP_2)
	v_subrev_nc_u32_e32 v9, s18, v7
	v_cmp_le_u32_e32 vcc_lo, s18, v7
	v_dual_cndmask_b32 v7, v7, v9 :: v_dual_cndmask_b32 v2, v2, v8
	s_delay_alu instid0(VALU_DEP_1) | instskip(NEXT) | instid1(VALU_DEP_2)
	v_cmp_le_u32_e32 vcc_lo, s18, v7
	v_add_nc_u32_e32 v8, 1, v2
	s_delay_alu instid0(VALU_DEP_1)
	v_dual_cndmask_b32 v7, v2, v8 :: v_dual_mov_b32 v8, v1
.LBB0_6:                                ;   in Loop: Header=BB0_2 Depth=1
	s_or_b32 exec_lo, exec_lo, s2
	s_load_b64 s[2:3], s[12:13], 0x0
	s_delay_alu instid0(VALU_DEP_1) | instskip(NEXT) | instid1(VALU_DEP_2)
	v_mul_lo_u32 v2, v8, s18
	v_mul_lo_u32 v11, v7, s19
	v_mad_u64_u32 v[9:10], null, v7, s18, 0
	s_add_u32 s16, s16, 1
	s_addc_u32 s17, s17, 0
	s_add_u32 s12, s12, 8
	s_addc_u32 s13, s13, 0
	;; [unrolled: 2-line block ×3, first 2 shown]
	s_delay_alu instid0(VALU_DEP_1) | instskip(SKIP_1) | instid1(VALU_DEP_2)
	v_add3_u32 v2, v10, v11, v2
	v_sub_co_u32 v9, vcc_lo, v5, v9
	v_sub_co_ci_u32_e32 v2, vcc_lo, v6, v2, vcc_lo
	s_waitcnt lgkmcnt(0)
	s_delay_alu instid0(VALU_DEP_2) | instskip(NEXT) | instid1(VALU_DEP_2)
	v_mul_lo_u32 v10, s3, v9
	v_mul_lo_u32 v2, s2, v2
	v_mad_u64_u32 v[5:6], null, s2, v9, v[3:4]
	v_cmp_ge_u64_e64 s2, s[16:17], s[6:7]
	s_delay_alu instid0(VALU_DEP_1) | instskip(NEXT) | instid1(VALU_DEP_2)
	s_and_b32 vcc_lo, exec_lo, s2
	v_add3_u32 v4, v10, v6, v2
	s_delay_alu instid0(VALU_DEP_3)
	v_mov_b32_e32 v3, v5
	s_cbranch_vccnz .LBB0_9
; %bb.7:                                ;   in Loop: Header=BB0_2 Depth=1
	v_dual_mov_b32 v5, v7 :: v_dual_mov_b32 v6, v8
	s_branch .LBB0_2
.LBB0_8:
	v_dual_mov_b32 v8, v6 :: v_dual_mov_b32 v7, v5
.LBB0_9:
	s_lshl_b64 s[2:3], s[6:7], 3
	v_mul_hi_u32 v1, 0x199999a, v0
	s_add_u32 s2, s10, s2
	s_addc_u32 s3, s11, s3
	s_load_b64 s[2:3], s[2:3], 0x0
	s_load_b64 s[0:1], s[0:1], 0x20
	s_delay_alu instid0(VALU_DEP_1) | instskip(NEXT) | instid1(VALU_DEP_1)
	v_mul_u32_u24_e32 v1, 0xa0, v1
	v_sub_nc_u32_e32 v0, v0, v1
	s_delay_alu instid0(VALU_DEP_1)
	v_dual_mov_b32 v1, 0 :: v_dual_mov_b32 v16, v0
	s_waitcnt lgkmcnt(0)
	v_mul_lo_u32 v2, s2, v8
	v_mul_lo_u32 v9, s3, v7
	v_mad_u64_u32 v[5:6], null, s2, v7, v[3:4]
	v_cmp_gt_u64_e32 vcc_lo, s[0:1], v[7:8]
	s_delay_alu instid0(VALU_DEP_2) | instskip(NEXT) | instid1(VALU_DEP_1)
	v_add3_u32 v6, v9, v6, v2
	v_lshlrev_b64 v[18:19], 2, v[5:6]
	s_and_saveexec_b32 s1, vcc_lo
	s_cbranch_execz .LBB0_13
; %bb.10:
	v_lshlrev_b64 v[5:6], 2, v[0:1]
	s_delay_alu instid0(VALU_DEP_2) | instskip(NEXT) | instid1(VALU_DEP_1)
	v_add_co_u32 v3, s0, s8, v18
	v_add_co_ci_u32_e64 v4, s0, s9, v19, s0
	v_or_b32_e32 v7, 0x500, v0
	v_mov_b32_e32 v8, v1
	s_delay_alu instid0(VALU_DEP_4)
	v_add_co_u32 v5, s0, v3, v5
	v_mov_b32_e32 v12, v1
	v_mov_b32_e32 v2, v1
	v_add_co_ci_u32_e64 v6, s0, v4, v6, s0
	v_mov_b32_e32 v1, v0
	v_lshlrev_b64 v[7:8], 2, v[7:8]
	v_or_b32_e32 v11, 0xa00, v0
	v_add_co_u32 v9, s0, 0x1000, v5
	s_delay_alu instid0(VALU_DEP_1) | instskip(NEXT) | instid1(VALU_DEP_4)
	v_add_co_ci_u32_e64 v10, s0, 0, v6, s0
	v_add_co_u32 v7, s0, v3, v7
	s_delay_alu instid0(VALU_DEP_4)
	v_lshlrev_b64 v[11:12], 2, v[11:12]
	v_add_co_ci_u32_e64 v8, s0, v4, v8, s0
	s_clause 0x7
	global_load_b32 v13, v[5:6], off
	global_load_b32 v14, v[5:6], off offset:640
	global_load_b32 v15, v[5:6], off offset:1280
	;; [unrolled: 1-line block ×7, first 2 shown]
	v_add_co_u32 v5, s0, 0x2000, v5
	s_delay_alu instid0(VALU_DEP_1) | instskip(SKIP_1) | instid1(VALU_DEP_1)
	v_add_co_ci_u32_e64 v6, s0, 0, v6, s0
	v_add_co_u32 v11, s0, v3, v11
	v_add_co_ci_u32_e64 v12, s0, v4, v12, s0
	s_clause 0xb
	global_load_b32 v23, v[9:10], off offset:1664
	global_load_b32 v24, v[9:10], off offset:2304
	global_load_b32 v25, v[9:10], off offset:2944
	global_load_b32 v26, v[5:6], off offset:128
	global_load_b32 v27, v[5:6], off offset:768
	global_load_b32 v28, v[5:6], off offset:1408
	global_load_b32 v7, v[7:8], off
	global_load_b32 v8, v[9:10], off offset:3584
	global_load_b32 v9, v[5:6], off offset:2688
	;; [unrolled: 1-line block ×3, first 2 shown]
	global_load_b32 v11, v[11:12], off
	global_load_b32 v5, v[5:6], off offset:3968
	v_lshl_add_u32 v6, v0, 2, 0
	v_cmp_eq_u32_e64 s0, 0x9f, v0
	s_delay_alu instid0(VALU_DEP_2)
	v_add_nc_u32_e32 v31, 0x1400, v6
	v_add_nc_u32_e32 v12, 0x400, v6
	;; [unrolled: 1-line block ×9, first 2 shown]
	s_waitcnt vmcnt(18)
	ds_store_2addr_b32 v6, v13, v14 offset1:160
	s_waitcnt vmcnt(16)
	ds_store_2addr_b32 v12, v15, v16 offset0:64 offset1:224
	s_waitcnt vmcnt(14)
	ds_store_2addr_b32 v29, v17, v20 offset1:160
	s_waitcnt vmcnt(12)
	ds_store_2addr_b32 v30, v21, v22 offset0:64 offset1:224
	s_waitcnt vmcnt(5)
	ds_store_2addr_b32 v31, v7, v23 offset1:160
	ds_store_2addr_b32 v32, v24, v25 offset0:64 offset1:224
	s_waitcnt vmcnt(4)
	ds_store_2addr_b32 v33, v8, v26 offset1:160
	;; [unrolled: 3-line block ×3, first 2 shown]
	s_waitcnt vmcnt(0)
	ds_store_2addr_b32 v36, v10, v5 offset0:64 offset1:224
	s_and_saveexec_b32 s2, s0
	s_cbranch_execz .LBB0_12
; %bb.11:
	v_add_co_u32 v0, s0, 0x3000, v3
	s_delay_alu instid0(VALU_DEP_1)
	v_add_co_ci_u32_e64 v1, s0, 0, v4, s0
	v_mov_b32_e32 v4, 0
	global_load_b32 v3, v[0:1], off offset:512
	v_mov_b32_e32 v1, 0x9f
	v_mov_b32_e32 v2, 0
	;; [unrolled: 1-line block ×3, first 2 shown]
	s_waitcnt vmcnt(0)
	ds_store_b32 v4, v3 offset:12800
.LBB0_12:
	s_or_b32 exec_lo, exec_lo, s2
	v_mov_b32_e32 v16, v0
	v_mov_b32_e32 v0, v1
	;; [unrolled: 1-line block ×3, first 2 shown]
.LBB0_13:
	s_or_b32 exec_lo, exec_lo, s1
	s_delay_alu instid0(VALU_DEP_3)
	v_lshlrev_b32_e32 v2, 2, v16
	s_waitcnt lgkmcnt(0)
	s_barrier
	buffer_gl0_inv
	v_lshlrev_b64 v[20:21], 2, v[0:1]
	v_add_nc_u32_e32 v26, 0, v2
	v_sub_nc_u32_e32 v2, 0, v2
	s_add_u32 s1, s4, 0x31d8
	s_addc_u32 s2, s5, 0
	s_mov_b32 s3, exec_lo
	ds_load_u16 v3, v26
	ds_load_u16 v4, v2 offset:12800
	s_waitcnt lgkmcnt(0)
	v_add_f16_e32 v0, v4, v3
	v_sub_f16_e32 v1, v3, v4
	v_cmpx_ne_u32_e32 0, v16
	s_xor_b32 s3, exec_lo, s3
	s_cbranch_execz .LBB0_15
; %bb.14:
	v_add_co_u32 v0, s0, s1, v20
	s_delay_alu instid0(VALU_DEP_1)
	v_add_co_ci_u32_e64 v1, s0, s2, v21, s0
	v_add_f16_e32 v6, v4, v3
	v_sub_f16_e32 v3, v3, v4
	global_load_b32 v5, v[0:1], off
	ds_load_u16 v0, v2 offset:12802
	ds_load_u16 v1, v26 offset:2
	s_waitcnt lgkmcnt(0)
	v_add_f16_e32 v4, v0, v1
	v_sub_f16_e32 v0, v1, v0
	s_waitcnt vmcnt(0)
	v_lshrrev_b32_e32 v7, 16, v5
	s_delay_alu instid0(VALU_DEP_1) | instskip(NEXT) | instid1(VALU_DEP_3)
	v_fma_f16 v8, -v3, v7, v6
	v_fma_f16 v9, v4, v7, -v0
	v_fma_f16 v6, v3, v7, v6
	v_fma_f16 v1, v4, v7, v0
	s_delay_alu instid0(VALU_DEP_4) | instskip(NEXT) | instid1(VALU_DEP_4)
	v_fmac_f16_e32 v8, v5, v4
	v_fmac_f16_e32 v9, v3, v5
	s_delay_alu instid0(VALU_DEP_4) | instskip(NEXT) | instid1(VALU_DEP_4)
	v_fma_f16 v0, -v5, v4, v6
	v_fmac_f16_e32 v1, v3, v5
	s_delay_alu instid0(VALU_DEP_3)
	v_pack_b32_f16 v4, v8, v9
	ds_store_b32 v2, v4 offset:12800
.LBB0_15:
	s_and_not1_saveexec_b32 s0, s3
	s_cbranch_execz .LBB0_17
; %bb.16:
	v_mov_b32_e32 v3, 0
	ds_load_b32 v4, v3 offset:6400
	s_waitcnt lgkmcnt(0)
	v_pk_mul_f16 v4, 0xc0004000, v4
	ds_store_b32 v3, v4 offset:6400
.LBB0_17:
	s_or_b32 exec_lo, exec_lo, s0
	v_dual_mov_b32 v17, 0 :: v_dual_add_nc_u32 v28, 0x1400, v26
	v_perm_b32 v11, v1, v0, 0x5040100
	v_add_nc_u32_e32 v36, 0xa0, v16
	v_add_nc_u32_e32 v34, 0x1800, v26
	s_delay_alu instid0(VALU_DEP_4)
	v_lshlrev_b64 v[22:23], 2, v[16:17]
	v_add_nc_u32_e32 v29, 0x1e00, v26
	v_add_nc_u32_e32 v33, 0x2200, v26
	;; [unrolled: 1-line block ×5, first 2 shown]
	v_add_co_u32 v3, s0, s1, v22
	s_delay_alu instid0(VALU_DEP_1) | instskip(SKIP_1) | instid1(VALU_DEP_3)
	v_add_co_ci_u32_e64 v4, s0, s2, v23, s0
	v_add_nc_u32_e32 v30, 0x400, v26
	v_add_co_u32 v0, s0, 0x1000, v3
	s_clause 0x5
	global_load_b32 v5, v[3:4], off offset:640
	global_load_b32 v6, v[3:4], off offset:1280
	;; [unrolled: 1-line block ×6, first 2 shown]
	v_add_co_ci_u32_e64 v1, s0, 0, v4, s0
	ds_store_b32 v26, v11
	global_load_b32 v11, v[0:1], off offset:384
	ds_load_b32 v3, v26 offset:640
	ds_load_b32 v4, v2 offset:12160
	global_load_b32 v0, v[0:1], off offset:1664
	s_waitcnt lgkmcnt(1)
	v_lshrrev_b32_e32 v12, 16, v3
	s_waitcnt lgkmcnt(0)
	v_lshrrev_b32_e32 v13, 16, v4
	v_add_f16_e32 v1, v3, v4
	v_sub_f16_e32 v14, v3, v4
	v_or_b32_e32 v3, 0x500, v16
	v_mov_b32_e32 v4, v17
	v_add_f16_e32 v15, v13, v12
	v_sub_f16_e32 v12, v12, v13
	s_waitcnt vmcnt(7)
	v_lshrrev_b32_e32 v24, 16, v5
	s_delay_alu instid0(VALU_DEP_1) | instskip(NEXT) | instid1(VALU_DEP_3)
	v_fma_f16 v13, v14, v24, v1
	v_fma_f16 v27, v15, v24, v12
	v_fma_f16 v1, -v14, v24, v1
	v_fma_f16 v12, v15, v24, -v12
	s_delay_alu instid0(VALU_DEP_4) | instskip(NEXT) | instid1(VALU_DEP_4)
	v_fma_f16 v13, -v5, v15, v13
	v_fmac_f16_e32 v27, v14, v5
	s_delay_alu instid0(VALU_DEP_4) | instskip(NEXT) | instid1(VALU_DEP_4)
	v_fmac_f16_e32 v1, v5, v15
	v_fmac_f16_e32 v12, v14, v5
	s_delay_alu instid0(VALU_DEP_3) | instskip(SKIP_2) | instid1(VALU_DEP_4)
	v_pack_b32_f16 v5, v13, v27
	v_add_nc_u32_e32 v27, 0xa00, v26
	v_lshlrev_b64 v[24:25], 2, v[3:4]
	v_pack_b32_f16 v1, v1, v12
	s_waitcnt vmcnt(6)
	v_lshrrev_b32_e32 v13, 16, v6
	s_delay_alu instid0(VALU_DEP_3) | instskip(NEXT) | instid1(VALU_DEP_1)
	v_add_co_u32 v3, s0, s1, v24
	v_add_co_ci_u32_e64 v4, s0, s2, v25, s0
	v_cmp_gt_u32_e64 s0, 0x64, v16
	global_load_b32 v3, v[3:4], off
	ds_store_b32 v26, v5 offset:640
	ds_store_b32 v2, v1 offset:12160
	ds_load_b32 v1, v26 offset:1280
	ds_load_b32 v4, v2 offset:11520
	s_waitcnt lgkmcnt(1)
	v_lshrrev_b32_e32 v5, 16, v1
	s_waitcnt lgkmcnt(0)
	v_lshrrev_b32_e32 v12, 16, v4
	v_add_f16_e32 v14, v1, v4
	v_sub_f16_e32 v1, v1, v4
	s_delay_alu instid0(VALU_DEP_3) | instskip(SKIP_1) | instid1(VALU_DEP_3)
	v_add_f16_e32 v4, v12, v5
	v_sub_f16_e32 v5, v5, v12
	v_fma_f16 v12, v1, v13, v14
	v_fma_f16 v14, -v1, v13, v14
	s_delay_alu instid0(VALU_DEP_3) | instskip(SKIP_1) | instid1(VALU_DEP_4)
	v_fma_f16 v15, v4, v13, v5
	v_fma_f16 v5, v4, v13, -v5
	v_fma_f16 v12, -v6, v4, v12
	s_delay_alu instid0(VALU_DEP_4) | instskip(NEXT) | instid1(VALU_DEP_4)
	v_fmac_f16_e32 v14, v6, v4
	v_fmac_f16_e32 v15, v1, v6
	s_delay_alu instid0(VALU_DEP_4) | instskip(NEXT) | instid1(VALU_DEP_2)
	v_fmac_f16_e32 v5, v1, v6
	v_pack_b32_f16 v1, v12, v15
	s_delay_alu instid0(VALU_DEP_2)
	v_pack_b32_f16 v4, v14, v5
	ds_store_b32 v26, v1 offset:1280
	ds_store_b32 v2, v4 offset:11520
	ds_load_b32 v1, v26 offset:1920
	ds_load_b32 v4, v2 offset:10880
	s_waitcnt vmcnt(6)
	v_lshrrev_b32_e32 v12, 16, v7
	s_waitcnt lgkmcnt(1)
	v_lshrrev_b32_e32 v5, 16, v1
	s_waitcnt lgkmcnt(0)
	v_lshrrev_b32_e32 v6, 16, v4
	v_add_f16_e32 v13, v1, v4
	v_sub_f16_e32 v1, v1, v4
	s_delay_alu instid0(VALU_DEP_3) | instskip(SKIP_1) | instid1(VALU_DEP_3)
	v_add_f16_e32 v4, v6, v5
	v_sub_f16_e32 v5, v5, v6
	v_fma_f16 v6, v1, v12, v13
	v_fma_f16 v13, -v1, v12, v13
	s_delay_alu instid0(VALU_DEP_3) | instskip(SKIP_1) | instid1(VALU_DEP_4)
	v_fma_f16 v14, v4, v12, v5
	v_fma_f16 v5, v4, v12, -v5
	v_fma_f16 v6, -v7, v4, v6
	s_delay_alu instid0(VALU_DEP_4) | instskip(NEXT) | instid1(VALU_DEP_4)
	v_fmac_f16_e32 v13, v7, v4
	v_fmac_f16_e32 v14, v1, v7
	s_delay_alu instid0(VALU_DEP_4) | instskip(SKIP_2) | instid1(VALU_DEP_3)
	v_fmac_f16_e32 v5, v1, v7
	s_waitcnt vmcnt(5)
	v_lshrrev_b32_e32 v7, 16, v8
	v_pack_b32_f16 v1, v6, v14
	s_delay_alu instid0(VALU_DEP_3)
	v_pack_b32_f16 v4, v13, v5
	ds_store_b32 v26, v1 offset:1920
	ds_store_b32 v2, v4 offset:10880
	ds_load_b32 v1, v26 offset:2560
	ds_load_b32 v4, v2 offset:10240
	s_waitcnt lgkmcnt(1)
	v_lshrrev_b32_e32 v5, 16, v1
	s_waitcnt lgkmcnt(0)
	v_lshrrev_b32_e32 v6, 16, v4
	v_add_f16_e32 v12, v1, v4
	v_sub_f16_e32 v1, v1, v4
	s_delay_alu instid0(VALU_DEP_3) | instskip(SKIP_1) | instid1(VALU_DEP_3)
	v_add_f16_e32 v4, v6, v5
	v_sub_f16_e32 v5, v5, v6
	v_fma_f16 v6, v1, v7, v12
	v_fma_f16 v12, -v1, v7, v12
	s_delay_alu instid0(VALU_DEP_3) | instskip(SKIP_1) | instid1(VALU_DEP_4)
	v_fma_f16 v13, v4, v7, v5
	v_fma_f16 v5, v4, v7, -v5
	v_fma_f16 v6, -v8, v4, v6
	s_delay_alu instid0(VALU_DEP_4) | instskip(SKIP_4) | instid1(VALU_DEP_2)
	v_fmac_f16_e32 v12, v8, v4
	s_waitcnt vmcnt(4)
	v_lshrrev_b32_e32 v7, 16, v9
	v_fmac_f16_e32 v13, v1, v8
	v_fmac_f16_e32 v5, v1, v8
	v_pack_b32_f16 v1, v6, v13
	s_delay_alu instid0(VALU_DEP_2)
	v_pack_b32_f16 v4, v12, v5
	ds_store_b32 v26, v1 offset:2560
	ds_store_b32 v2, v4 offset:10240
	ds_load_b32 v1, v26 offset:3200
	ds_load_b32 v4, v2 offset:9600
	s_waitcnt lgkmcnt(1)
	v_lshrrev_b32_e32 v5, 16, v1
	s_waitcnt lgkmcnt(0)
	v_lshrrev_b32_e32 v6, 16, v4
	v_add_f16_e32 v8, v1, v4
	v_sub_f16_e32 v1, v1, v4
	s_delay_alu instid0(VALU_DEP_3) | instskip(SKIP_1) | instid1(VALU_DEP_3)
	v_add_f16_e32 v4, v6, v5
	v_sub_f16_e32 v5, v5, v6
	v_fma_f16 v6, v1, v7, v8
	v_fma_f16 v8, -v1, v7, v8
	s_delay_alu instid0(VALU_DEP_3) | instskip(SKIP_1) | instid1(VALU_DEP_4)
	v_fma_f16 v12, v4, v7, v5
	v_fma_f16 v5, v4, v7, -v5
	v_fma_f16 v6, -v9, v4, v6
	s_delay_alu instid0(VALU_DEP_4) | instskip(SKIP_4) | instid1(VALU_DEP_2)
	v_fmac_f16_e32 v8, v9, v4
	s_waitcnt vmcnt(3)
	v_lshrrev_b32_e32 v7, 16, v10
	v_fmac_f16_e32 v12, v1, v9
	v_fmac_f16_e32 v5, v1, v9
	v_pack_b32_f16 v1, v6, v12
	s_delay_alu instid0(VALU_DEP_2)
	;; [unrolled: 28-line block ×3, first 2 shown]
	v_pack_b32_f16 v4, v8, v5
	ds_store_b32 v26, v1 offset:3840
	ds_store_b32 v2, v4 offset:8960
	ds_load_b32 v1, v26 offset:4480
	ds_load_b32 v4, v2 offset:8320
	s_waitcnt lgkmcnt(1)
	v_lshrrev_b32_e32 v5, 16, v1
	s_waitcnt lgkmcnt(0)
	v_lshrrev_b32_e32 v6, 16, v4
	v_add_f16_e32 v8, v1, v4
	v_sub_f16_e32 v1, v1, v4
	s_delay_alu instid0(VALU_DEP_3) | instskip(SKIP_1) | instid1(VALU_DEP_3)
	v_add_f16_e32 v4, v6, v5
	v_sub_f16_e32 v5, v5, v6
	v_fma_f16 v6, v1, v7, v8
	v_fma_f16 v8, -v1, v7, v8
	s_delay_alu instid0(VALU_DEP_3) | instskip(SKIP_1) | instid1(VALU_DEP_4)
	v_fma_f16 v9, v4, v7, v5
	v_fma_f16 v5, v4, v7, -v5
	v_fma_f16 v6, -v11, v4, v6
	s_delay_alu instid0(VALU_DEP_4) | instskip(NEXT) | instid1(VALU_DEP_4)
	v_fmac_f16_e32 v8, v11, v4
	v_fmac_f16_e32 v9, v1, v11
	s_delay_alu instid0(VALU_DEP_4) | instskip(NEXT) | instid1(VALU_DEP_2)
	v_fmac_f16_e32 v5, v1, v11
	v_pack_b32_f16 v1, v6, v9
	s_delay_alu instid0(VALU_DEP_2)
	v_pack_b32_f16 v4, v8, v5
	ds_store_b32 v26, v1 offset:4480
	ds_store_b32 v2, v4 offset:8320
	ds_load_b32 v1, v26 offset:5120
	ds_load_b32 v4, v2 offset:7680
	s_waitcnt lgkmcnt(1)
	v_lshrrev_b32_e32 v5, 16, v1
	s_waitcnt lgkmcnt(0)
	v_lshrrev_b32_e32 v6, 16, v4
	v_add_f16_e32 v8, v1, v4
	v_sub_f16_e32 v1, v1, v4
	s_delay_alu instid0(VALU_DEP_3) | instskip(SKIP_3) | instid1(VALU_DEP_1)
	v_add_f16_e32 v4, v6, v5
	v_sub_f16_e32 v5, v5, v6
	s_waitcnt vmcnt(0)
	v_lshrrev_b32_e32 v7, 16, v3
	v_fma_f16 v6, v1, v7, v8
	s_delay_alu instid0(VALU_DEP_3)
	v_fma_f16 v9, v4, v7, v5
	v_fma_f16 v8, -v1, v7, v8
	v_fma_f16 v5, v4, v7, -v5
	v_lshrrev_b32_e32 v7, 16, v0
	v_fma_f16 v6, -v3, v4, v6
	v_fmac_f16_e32 v9, v1, v3
	v_fmac_f16_e32 v8, v3, v4
	;; [unrolled: 1-line block ×3, first 2 shown]
	v_and_b32_e32 v4, 0xff, v16
	s_delay_alu instid0(VALU_DEP_4) | instskip(NEXT) | instid1(VALU_DEP_3)
	v_pack_b32_f16 v1, v6, v9
	v_pack_b32_f16 v3, v8, v5
	ds_store_b32 v26, v1 offset:5120
	ds_store_b32 v2, v3 offset:7680
	ds_load_b32 v1, v26 offset:5760
	ds_load_b32 v3, v2 offset:7040
	v_mul_lo_u16 v4, 0xcd, v4
	v_and_b32_e32 v5, 0xffff, v36
	s_delay_alu instid0(VALU_DEP_2) | instskip(NEXT) | instid1(VALU_DEP_2)
	v_lshrrev_b16 v37, 11, v4
	v_mul_u32_u24_e32 v5, 0xcccd, v5
	s_delay_alu instid0(VALU_DEP_1)
	v_lshrrev_b32_e32 v38, 19, v5
	s_waitcnt lgkmcnt(1)
	v_lshrrev_b32_e32 v4, 16, v1
	s_waitcnt lgkmcnt(0)
	v_lshrrev_b32_e32 v6, 16, v3
	v_add_f16_e32 v8, v1, v3
	v_sub_f16_e32 v1, v1, v3
	s_delay_alu instid0(VALU_DEP_3) | instskip(SKIP_2) | instid1(VALU_DEP_4)
	v_add_f16_e32 v3, v6, v4
	v_sub_f16_e32 v4, v4, v6
	v_mul_lo_u16 v6, v37, 10
	v_fma_f16 v5, v1, v7, v8
	v_fma_f16 v8, -v1, v7, v8
	v_and_b32_e32 v37, 0xffff, v37
	v_fma_f16 v9, v3, v7, v4
	v_fma_f16 v4, v3, v7, -v4
	v_mul_lo_u16 v7, v38, 10
	v_fma_f16 v5, -v0, v3, v5
	v_fmac_f16_e32 v8, v0, v3
	v_sub_nc_u16 v3, v16, v6
	v_fmac_f16_e32 v9, v1, v0
	v_sub_nc_u16 v6, v36, v7
	v_fmac_f16_e32 v4, v1, v0
	v_mad_u32_u24 v0, v16, 36, v26
	v_and_b32_e32 v39, 0xff, v3
	v_pack_b32_f16 v5, v5, v9
	v_and_b32_e32 v40, 0xffff, v6
	v_pack_b32_f16 v4, v8, v4
	ds_store_b32 v26, v5 offset:5760
	ds_store_b32 v2, v4 offset:7040
	v_mul_u32_u24_e32 v10, 9, v39
	v_mul_u32_u24_e32 v12, 9, v40
	s_waitcnt lgkmcnt(0)
	s_barrier
	buffer_gl0_inv
	s_barrier
	buffer_gl0_inv
	ds_load_2addr_b32 v[2:3], v28 offset1:160
	ds_load_2addr_b32 v[4:5], v29 offset1:160
	;; [unrolled: 1-line block ×4, first 2 shown]
	v_lshlrev_b32_e32 v51, 2, v10
	ds_load_2addr_b32 v[10:11], v26 offset1:160
	v_lshlrev_b32_e32 v52, 2, v12
	ds_load_2addr_b32 v[12:13], v34 offset0:64 offset1:224
	ds_load_2addr_b32 v[14:15], v33 offset0:64 offset1:224
	;; [unrolled: 1-line block ×5, first 2 shown]
	v_add_nc_u32_e32 v1, 0x1900, v0
	v_add_nc_u32_e32 v47, 0x1908, v0
	;; [unrolled: 1-line block ×5, first 2 shown]
	s_waitcnt lgkmcnt(0)
	s_barrier
	buffer_gl0_inv
	v_lshlrev_b32_e32 v39, 2, v39
	v_lshrrev_b32_e32 v56, 16, v2
	v_lshrrev_b32_e32 v57, 16, v4
	;; [unrolled: 1-line block ×4, first 2 shown]
	v_sub_f16_e32 v58, v8, v4
	v_sub_f16_e32 v59, v6, v2
	;; [unrolled: 1-line block ×4, first 2 shown]
	v_pk_add_f16 v63, v10, v6
	v_add_f16_e32 v66, v12, v14
	v_lshrrev_b32_e32 v69, 16, v12
	v_lshrrev_b32_e32 v70, 16, v14
	v_add_f16_e32 v73, v41, v43
	v_sub_f16_e32 v74, v14, v43
	v_sub_f16_e32 v75, v12, v41
	v_pk_add_f16 v76, v45, v41
	v_pk_add_f16 v89, v11, v7
	;; [unrolled: 1-line block ×3, first 2 shown]
	v_add_f16_e32 v53, v2, v4
	v_add_f16_e32 v60, v6, v8
	v_lshrrev_b32_e32 v67, 16, v41
	v_lshrrev_b32_e32 v68, 16, v43
	v_sub_f16_e32 v71, v43, v14
	v_sub_f16_e32 v72, v41, v12
	v_add_f16_e32 v79, v3, v5
	v_lshrrev_b32_e32 v80, 16, v7
	v_lshrrev_b32_e32 v81, 16, v9
	;; [unrolled: 1-line block ×4, first 2 shown]
	v_sub_f16_e32 v84, v9, v5
	v_sub_f16_e32 v85, v7, v3
	v_add_f16_e32 v86, v7, v9
	v_sub_f16_e32 v87, v5, v9
	v_sub_f16_e32 v88, v3, v7
	v_add_f16_e32 v92, v13, v15
	v_lshrrev_b32_e32 v93, 16, v42
	v_lshrrev_b32_e32 v94, 16, v44
	;; [unrolled: 1-line block ×4, first 2 shown]
	v_sub_f16_e32 v97, v42, v13
	v_add_f16_e32 v98, v42, v44
	v_sub_f16_e32 v99, v13, v42
	v_sub_f16_e32 v101, v44, v15
	;; [unrolled: 1-line block ×3, first 2 shown]
	v_lshrrev_b32_e32 v64, 16, v10
	v_sub_f16_e32 v65, v2, v4
	v_lshrrev_b32_e32 v77, 16, v45
	v_sub_f16_e32 v78, v12, v14
	v_sub_f16_e32 v91, v3, v5
	;; [unrolled: 1-line block ×3, first 2 shown]
	v_pk_add_f16 v2, v63, v2
	v_pk_add_f16 v3, v89, v3
	v_fma_f16 v63, -0.5, v66, v45
	v_fma_f16 v45, -0.5, v73, v45
	v_pk_add_f16 v12, v76, v12
	v_pk_add_f16 v13, v100, v13
	v_sub_f16_e32 v73, v54, v55
	v_add_f16_e32 v58, v59, v58
	v_sub_f16_e32 v59, v56, v57
	v_add_f16_e32 v61, v62, v61
	v_add_f16_e32 v62, v56, v57
	v_sub_f16_e32 v76, v54, v56
	v_sub_f16_e32 v56, v56, v54
	v_add_f16_e32 v54, v54, v55
	v_add_f16_e32 v74, v75, v74
	;; [unrolled: 1-line block ×3, first 2 shown]
	v_lshrrev_b32_e32 v90, 16, v11
	v_fma_f16 v53, -0.5, v53, v10
	v_fma_f16 v10, -0.5, v60, v10
	;; [unrolled: 1-line block ×5, first 2 shown]
	v_sub_f16_e32 v79, v55, v57
	v_sub_f16_e32 v55, v57, v55
	;; [unrolled: 1-line block ×3, first 2 shown]
	v_add_f16_e32 v71, v72, v71
	v_sub_f16_e32 v72, v69, v70
	v_sub_f16_e32 v86, v67, v69
	;; [unrolled: 1-line block ×4, first 2 shown]
	v_add_f16_e32 v67, v67, v68
	v_sub_f16_e32 v68, v70, v68
	v_sub_f16_e32 v70, v80, v81
	v_add_f16_e32 v84, v85, v84
	v_sub_f16_e32 v85, v82, v83
	v_add_f16_e32 v87, v88, v87
	v_add_f16_e32 v88, v82, v83
	v_sub_f16_e32 v92, v80, v82
	v_sub_f16_e32 v82, v82, v80
	v_add_f16_e32 v80, v80, v81
	v_lshrrev_b32_e32 v102, 16, v46
	v_fma_f16 v46, -0.5, v98, v46
	v_sub_f16_e32 v98, v81, v83
	v_sub_f16_e32 v81, v83, v81
	;; [unrolled: 1-line block ×3, first 2 shown]
	v_add_f16_e32 v97, v97, v101
	v_sub_f16_e32 v100, v95, v96
	v_add_f16_e32 v99, v99, v103
	v_add_f16_e32 v101, v95, v96
	v_sub_f16_e32 v103, v93, v95
	v_sub_f16_e32 v95, v95, v93
	v_add_f16_e32 v93, v93, v94
	v_sub_f16_e32 v41, v41, v43
	v_pk_add_f16 v2, v2, v4
	v_pk_add_f16 v3, v3, v5
	;; [unrolled: 1-line block ×4, first 2 shown]
	v_fma_f16 v13, -0.5, v62, v64
	v_fmac_f16_e32 v64, -0.5, v54
	v_fma_f16 v54, -0.5, v75, v77
	v_fmac_f16_e32 v77, -0.5, v67
	;; [unrolled: 2-line block ×3, first 2 shown]
	v_fmamk_f16 v80, v57, 0xbb9c, v63
	v_sub_f16_e32 v42, v42, v44
	v_add_f16_e32 v15, v86, v89
	v_fma_f16 v75, -0.5, v101, v102
	v_fmac_f16_e32 v102, -0.5, v93
	v_fmac_f16_e32 v63, 0x3b9c, v57
	v_fmamk_f16 v86, v85, 0x3b9c, v11
	v_fmac_f16_e32 v11, 0xbb9c, v85
	v_sub_f16_e32 v6, v6, v8
	v_pk_add_f16 v4, v4, v43
	v_fmamk_f16 v43, v41, 0x3b9c, v54
	v_fmamk_f16 v88, v83, 0xbb9c, v66
	v_pk_add_f16 v5, v5, v44
	v_fmac_f16_e32 v80, 0xb8b4, v72
	v_fmamk_f16 v44, v78, 0xbb9c, v77
	v_fmac_f16_e32 v77, 0x3b9c, v78
	v_fmac_f16_e32 v54, 0xbb9c, v41
	v_sub_f16_e32 v7, v7, v9
	v_sub_f16_e32 v105, v94, v96
	;; [unrolled: 1-line block ×3, first 2 shown]
	v_add_f16_e32 v14, v56, v55
	v_add_f16_e32 v55, v69, v68
	;; [unrolled: 1-line block ×3, first 2 shown]
	v_fmamk_f16 v69, v73, 0xbb9c, v53
	v_fmac_f16_e32 v53, 0x3b9c, v73
	v_fmamk_f16 v81, v72, 0x3b9c, v45
	v_fmac_f16_e32 v45, 0xbb9c, v72
	;; [unrolled: 2-line block ×3, first 2 shown]
	v_fmac_f16_e32 v63, 0x38b4, v72
	v_fmac_f16_e32 v86, 0xb8b4, v70
	;; [unrolled: 1-line block ×3, first 2 shown]
	v_fmamk_f16 v70, v42, 0x3b9c, v75
	v_fmac_f16_e32 v75, 0xbb9c, v42
	v_fmamk_f16 v72, v104, 0xbb9c, v102
	v_fmac_f16_e32 v102, 0x3b9c, v104
	v_pk_add_f16 v2, v2, v8
	v_fmamk_f16 v8, v6, 0x3b9c, v13
	v_fmac_f16_e32 v13, 0xbb9c, v6
	v_fmac_f16_e32 v43, 0x38b4, v78
	v_pk_add_f16 v3, v3, v9
	v_fmac_f16_e32 v88, 0xb8b4, v100
	v_fmamk_f16 v9, v65, 0xbb9c, v64
	v_fmac_f16_e32 v64, 0x3b9c, v65
	v_fmac_f16_e32 v80, 0x34f2, v71
	;; [unrolled: 1-line block ×5, first 2 shown]
	v_add_f16_e32 v12, v76, v79
	v_add_f16_e32 v68, v103, v105
	v_fmamk_f16 v76, v59, 0x3b9c, v10
	v_fmac_f16_e32 v10, 0xbb9c, v59
	v_add_f16_e32 v79, v95, v94
	v_fmac_f16_e32 v66, 0x3b9c, v83
	v_fmamk_f16 v89, v100, 0x3b9c, v46
	v_fmac_f16_e32 v46, 0xbb9c, v100
	v_fmac_f16_e32 v69, 0xb8b4, v59
	;; [unrolled: 1-line block ×5, first 2 shown]
	v_fmamk_f16 v57, v7, 0x3b9c, v62
	v_fmac_f16_e32 v62, 0xbb9c, v7
	v_fmamk_f16 v59, v91, 0xbb9c, v90
	v_fmac_f16_e32 v90, 0x3b9c, v91
	v_fmac_f16_e32 v70, 0x38b4, v104
	v_fmac_f16_e32 v75, 0xb8b4, v104
	v_fmac_f16_e32 v72, 0x38b4, v42
	v_fmac_f16_e32 v102, 0xb8b4, v42
	v_fmac_f16_e32 v8, 0x38b4, v65
	v_fmac_f16_e32 v13, 0xb8b4, v65
	v_fmac_f16_e32 v43, 0x34f2, v15
	v_fmac_f16_e32 v9, 0x38b4, v6
	v_fmac_f16_e32 v64, 0xb8b4, v6
	v_pk_add_f16 v6, v2, v4
	v_pk_add_f16 v2, v2, v4 neg_lo:[0,1] neg_hi:[0,1]
	v_fmac_f16_e32 v88, 0x34f2, v97
	v_pk_add_f16 v4, v3, v5
	v_pk_add_f16 v3, v3, v5 neg_lo:[0,1] neg_hi:[0,1]
	v_fmac_f16_e32 v44, 0x34f2, v55
	v_fmac_f16_e32 v77, 0x34f2, v55
	v_mul_f16_e32 v5, 0x38b4, v80
	v_fmac_f16_e32 v54, 0x34f2, v15
	v_add_f16_e32 v56, v92, v98
	v_fmac_f16_e32 v76, 0xb8b4, v73
	v_fmac_f16_e32 v10, 0x38b4, v73
	;; [unrolled: 1-line block ×15, first 2 shown]
	v_mul_f16_e32 v12, 0xb8b4, v43
	v_fmac_f16_e32 v81, 0x34f2, v74
	v_fmac_f16_e32 v45, 0x34f2, v74
	;; [unrolled: 1-line block ×4, first 2 shown]
	v_mul_f16_e32 v7, 0x38b4, v88
	v_mul_f16_e32 v14, 0xbb9c, v44
	;; [unrolled: 1-line block ×3, first 2 shown]
	v_fmac_f16_e32 v5, 0x3a79, v43
	v_mul_f16_e32 v42, 0x34f2, v44
	v_mul_f16_e32 v43, 0xb4f2, v77
	v_fmac_f16_e32 v63, 0x34f2, v71
	v_mul_f16_e32 v41, 0xb8b4, v54
	v_mul_f16_e32 v44, 0xba79, v54
	v_fmac_f16_e32 v82, 0xb8b4, v85
	v_fmac_f16_e32 v60, 0x38b4, v85
	;; [unrolled: 1-line block ×13, first 2 shown]
	v_mul_f16_e32 v54, 0xb8b4, v70
	v_mul_f16_e32 v55, 0xbb9c, v72
	;; [unrolled: 1-line block ×7, first 2 shown]
	v_fmac_f16_e32 v12, 0x3a79, v80
	v_fmac_f16_e32 v7, 0x3a79, v70
	;; [unrolled: 1-line block ×19, first 2 shown]
	v_add_f16_e32 v68, v8, v5
	v_add_f16_e32 v45, v69, v12
	v_sub_f16_e32 v5, v8, v5
	v_add_f16_e32 v8, v57, v7
	v_sub_f16_e32 v7, v57, v7
	v_add_f16_e32 v46, v76, v14
	v_add_f16_e32 v57, v10, v15
	;; [unrolled: 1-line block ×6, first 2 shown]
	v_sub_f16_e32 v12, v69, v12
	v_sub_f16_e32 v14, v76, v14
	;; [unrolled: 1-line block ×7, first 2 shown]
	v_add_f16_e32 v42, v82, v54
	v_add_f16_e32 v43, v86, v55
	v_add_f16_e32 v44, v11, v56
	v_add_f16_e32 v53, v60, v58
	v_add_f16_e32 v64, v59, v61
	v_add_f16_e32 v69, v90, v65
	v_add_f16_e32 v72, v62, v67
	v_sub_f16_e32 v54, v82, v54
	v_sub_f16_e32 v55, v86, v55
	;; [unrolled: 1-line block ×7, first 2 shown]
	v_pack_b32_f16 v45, v45, v68
	v_pack_b32_f16 v57, v57, v70
	;; [unrolled: 1-line block ×16, first 2 shown]
	ds_store_2addr_b32 v0, v6, v45 offset1:1
	ds_store_2addr_b32 v0, v46, v57 offset0:2 offset1:3
	ds_store_2addr_b32 v0, v61, v2 offset0:4 offset1:5
	;; [unrolled: 1-line block ×4, first 2 shown]
	ds_store_2addr_b32 v1, v4, v8 offset1:1
	ds_store_2addr_b32 v47, v14, v13 offset1:1
	;; [unrolled: 1-line block ×5, first 2 shown]
	s_waitcnt lgkmcnt(0)
	s_barrier
	buffer_gl0_inv
	s_clause 0x5
	global_load_b128 v[12:15], v51, s[4:5]
	global_load_b128 v[4:7], v52, s[4:5]
	global_load_b128 v[0:3], v51, s[4:5] offset:16
	global_load_b32 v41, v51, s[4:5] offset:32
	global_load_b128 v[8:11], v52, s[4:5] offset:16
	global_load_b32 v42, v52, s[4:5] offset:32
	v_add_nc_u32_e32 v44, 0xffffff9c, v16
	v_add_nc_u32_e32 v43, 0x140, v16
	v_add_nc_u16 v51, v16, 0x1e0
	v_add_nc_u16 v52, v16, 0x280
	v_lshrrev_b16 v45, 2, v36
	v_cndmask_b32_e64 v44, v44, v16, s0
	v_lshrrev_b16 v47, 2, v43
	v_lshrrev_b16 v48, 2, v51
	;; [unrolled: 1-line block ×3, first 2 shown]
	v_mov_b32_e32 v46, v17
	v_and_b32_e32 v50, 0xffff, v45
	v_mul_i32_i24_e32 v45, 3, v44
	v_and_b32_e32 v53, 0xffff, v47
	v_and_b32_e32 v54, 0xffff, v48
	;; [unrolled: 1-line block ×3, first 2 shown]
	v_mul_u32_u24_e32 v50, 0x147b, v50
	v_lshlrev_b64 v[47:48], 2, v[45:46]
	v_mul_u32_u24_e32 v45, 0x147b, v53
	v_mul_u32_u24_e32 v46, 0x147b, v54
	v_mul_u32_u24_e32 v49, 0x147b, v49
	v_mul_u32_u24_e32 v53, 0x190, v37
	v_mul_u32_u24_e32 v71, 0x190, v38
	v_lshrrev_b32_e32 v37, 17, v50
	v_lshrrev_b32_e32 v38, 17, v45
	;; [unrolled: 1-line block ×4, first 2 shown]
	v_add_co_u32 v49, s0, s4, v47
	s_delay_alu instid0(VALU_DEP_1)
	v_add_co_ci_u32_e64 v50, s0, s5, v48, s0
	v_mul_lo_u16 v47, 0x64, v37
	v_mul_lo_u16 v48, 0x64, v38
	;; [unrolled: 1-line block ×4, first 2 shown]
	v_add3_u32 v74, 0, v53, v39
	v_sub_nc_u16 v36, v36, v47
	v_sub_nc_u16 v47, v43, v48
	;; [unrolled: 1-line block ×4, first 2 shown]
	ds_load_2addr_b32 v[51:52], v26 offset1:160
	ds_load_2addr_b32 v[53:54], v28 offset1:160
	ds_load_2addr_b32 v[55:56], v34 offset0:64 offset1:224
	ds_load_2addr_b32 v[57:58], v29 offset1:160
	ds_load_2addr_b32 v[59:60], v33 offset0:64 offset1:224
	;; [unrolled: 2-line block ×3, first 2 shown]
	ds_load_2addr_b32 v[65:66], v30 offset0:64 offset1:224
	ds_load_2addr_b32 v[67:68], v27 offset1:160
	ds_load_2addr_b32 v[69:70], v32 offset0:64 offset1:224
	v_and_b32_e32 v39, 0xffff, v36
	v_and_b32_e32 v36, 0xffff, v47
	v_lshlrev_b32_e32 v73, 2, v40
	v_and_b32_e32 v40, 0xffff, v48
	v_and_b32_e32 v47, 0xffff, v72
	v_mul_u32_u24_e32 v48, 3, v39
	v_mul_u32_u24_e32 v72, 3, v36
	v_add3_u32 v71, 0, v71, v73
	v_mul_u32_u24_e32 v73, 3, v40
	s_waitcnt vmcnt(0) lgkmcnt(0)
	v_lshlrev_b32_e32 v48, 2, v48
	s_barrier
	v_lshrrev_b32_e32 v75, 16, v51
	v_lshrrev_b32_e32 v76, 16, v53
	;; [unrolled: 1-line block ×20, first 2 shown]
	buffer_gl0_inv
	v_cmp_lt_u32_e64 s0, 0x63, v16
	v_mul_u32_u24_e32 v37, 0x640, v37
	v_lshlrev_b32_e32 v40, 2, v40
	v_lshrrev_b32_e32 v95, 16, v12
	v_lshrrev_b32_e32 v96, 16, v13
	v_lshrrev_b32_e32 v97, 16, v14
	v_lshrrev_b32_e32 v98, 16, v15
	v_lshrrev_b32_e32 v99, 16, v4
	v_lshrrev_b32_e32 v100, 16, v5
	v_lshrrev_b32_e32 v102, 16, v7
	v_lshrrev_b32_e32 v103, 16, v0
	v_lshrrev_b32_e32 v104, 16, v1
	v_lshrrev_b32_e32 v105, 16, v2
	v_lshrrev_b32_e32 v107, 16, v41
	v_lshrrev_b32_e32 v108, 16, v8
	v_lshrrev_b32_e32 v109, 16, v9
	v_lshrrev_b32_e32 v111, 16, v11
	v_mul_f16_e32 v113, v95, v65
	v_mul_f16_e32 v114, v96, v67
	;; [unrolled: 1-line block ×9, first 2 shown]
	v_lshrrev_b32_e32 v101, 16, v6
	v_lshrrev_b32_e32 v106, 16, v3
	;; [unrolled: 1-line block ×4, first 2 shown]
	v_mul_f16_e32 v99, v66, v99
	v_fma_f16 v88, v12, v88, -v113
	v_mul_f16_e32 v113, v84, v100
	v_fma_f16 v89, v13, v89, -v114
	v_fma_f16 v90, v14, v90, -v115
	v_mul_f16_e32 v115, v86, v102
	v_fma_f16 v76, v76, v15, -v116
	v_mul_f16_e32 v116, v55, v103
	v_fmac_f16_e32 v95, v12, v65
	v_fmac_f16_e32 v96, v13, v67
	;; [unrolled: 1-line block ×4, first 2 shown]
	v_mul_f16_e32 v12, v57, v104
	v_mul_f16_e32 v13, v77, v103
	;; [unrolled: 1-line block ×6, first 2 shown]
	v_fmac_f16_e32 v117, v66, v4
	v_mul_f16_e32 v66, v87, v108
	v_mul_f16_e32 v104, v56, v108
	;; [unrolled: 1-line block ×12, first 2 shown]
	v_fmac_f16_e32 v113, v68, v5
	v_mul_f16_e32 v68, v92, v110
	v_mul_f16_e32 v107, v60, v110
	;; [unrolled: 1-line block ×4, first 2 shown]
	v_fmac_f16_e32 v115, v54, v7
	v_fma_f16 v54, v77, v0, -v116
	v_fma_f16 v14, v79, v2, -v14
	v_fmac_f16_e32 v13, v55, v0
	v_fma_f16 v0, v81, v41, -v69
	v_fmac_f16_e32 v105, v58, v9
	v_fmac_f16_e32 v108, v62, v11
	;; [unrolled: 1-line block ×3, first 2 shown]
	v_mul_f16_e32 v70, v94, v112
	v_fma_f16 v12, v78, v1, -v12
	v_fma_f16 v53, v80, v3, -v53
	v_fmac_f16_e32 v65, v59, v2
	v_fmac_f16_e32 v103, v63, v41
	v_fma_f16 v5, v84, v5, -v100
	v_fma_f16 v6, v85, v6, -v101
	v_fma_f16 v7, v86, v7, -v102
	v_fmac_f16_e32 v15, v57, v1
	v_fmac_f16_e32 v67, v61, v3
	;; [unrolled: 1-line block ×3, first 2 shown]
	v_fma_f16 v1, v87, v8, -v104
	v_fma_f16 v2, v91, v9, -v106
	;; [unrolled: 1-line block ×5, first 2 shown]
	v_sub_f16_e32 v86, v54, v90
	v_sub_f16_e32 v87, v14, v0
	;; [unrolled: 1-line block ×4, first 2 shown]
	v_fma_f16 v4, v83, v4, -v99
	v_fmac_f16_e32 v68, v60, v10
	v_fmac_f16_e32 v70, v64, v42
	v_add_f16_e32 v56, v76, v12
	v_sub_f16_e32 v57, v89, v76
	v_sub_f16_e32 v58, v53, v12
	v_add_f16_e32 v59, v89, v53
	v_sub_f16_e32 v60, v76, v89
	v_sub_f16_e32 v61, v12, v53
	;; [unrolled: 3-line block ×5, first 2 shown]
	v_add_f16_e32 v85, v90, v0
	v_add_f16_e32 v91, v115, v105
	;; [unrolled: 1-line block ×3, first 2 shown]
	v_sub_f16_e32 v99, v115, v113
	v_sub_f16_e32 v100, v105, v108
	;; [unrolled: 1-line block ×4, first 2 shown]
	v_add_f16_e32 v86, v86, v87
	v_sub_f16_e32 v87, v1, v6
	v_add_f16_e32 v92, v92, v93
	v_sub_f16_e32 v93, v3, v9
	v_sub_f16_e32 v10, v96, v98
	;; [unrolled: 1-line block ×5, first 2 shown]
	v_add_f16_e32 v55, v75, v89
	v_add_f16_e32 v62, v95, v97
	;; [unrolled: 1-line block ×7, first 2 shown]
	v_sub_f16_e32 v112, v114, v66
	v_sub_f16_e32 v116, v70, v68
	v_add_f16_e32 v57, v57, v58
	v_add_f16_e32 v58, v117, v114
	v_fma_f16 v56, -0.5, v56, v75
	v_fmac_f16_e32 v75, -0.5, v59
	v_sub_f16_e32 v59, v66, v114
	v_add_f16_e32 v60, v60, v61
	v_sub_f16_e32 v61, v68, v70
	v_add_f16_e32 v64, v64, v69
	v_sub_f16_e32 v69, v6, v1
	v_fma_f16 v63, -0.5, v63, v95
	v_fmac_f16_e32 v95, -0.5, v77
	v_sub_f16_e32 v77, v9, v3
	v_add_f16_e32 v78, v78, v79
	v_add_f16_e32 v79, v1, v3
	;; [unrolled: 1-line block ×4, first 2 shown]
	v_fma_f16 v81, -0.5, v81, v88
	v_fmac_f16_e32 v88, -0.5, v85
	v_add_f16_e32 v85, v4, v6
	v_fma_f16 v91, -0.5, v91, v52
	v_fmac_f16_e32 v52, -0.5, v94
	v_add_f16_e32 v94, v51, v96
	v_add_f16_e32 v99, v99, v100
	;; [unrolled: 1-line block ×3, first 2 shown]
	v_sub_f16_e32 v97, v97, v103
	v_add_f16_e32 v110, v110, v111
	v_sub_f16_e32 v111, v13, v65
	v_add_f16_e32 v87, v87, v93
	v_add_f16_e32 v93, v96, v67
	v_sub_f16_e32 v102, v5, v7
	v_sub_f16_e32 v104, v8, v2
	v_add_f16_e32 v10, v10, v11
	v_add_f16_e32 v11, v66, v68
	;; [unrolled: 1-line block ×4, first 2 shown]
	v_fma_f16 v106, -0.5, v106, v82
	v_fmac_f16_e32 v82, -0.5, v107
	v_sub_f16_e32 v107, v76, v12
	v_add_f16_e32 v112, v112, v116
	v_sub_f16_e32 v116, v54, v14
	v_add_f16_e32 v59, v59, v61
	;; [unrolled: 2-line block ×3, first 2 shown]
	v_sub_f16_e32 v77, v66, v68
	v_fma_f16 v79, -0.5, v79, v4
	v_fmac_f16_e32 v4, -0.5, v84
	v_sub_f16_e32 v84, v1, v3
	v_sub_f16_e32 v89, v89, v53
	v_sub_f16_e32 v90, v90, v0
	v_sub_f16_e32 v114, v114, v70
	v_add_f16_e32 v94, v94, v98
	v_add_f16_e32 v55, v55, v76
	;; [unrolled: 1-line block ×8, first 2 shown]
	v_fma_f16 v66, -0.5, v100, v51
	v_fmamk_f16 v76, v97, 0x3b9c, v81
	v_fma_f16 v51, -0.5, v93, v51
	v_fmamk_f16 v80, v111, 0xbb9c, v88
	v_fmac_f16_e32 v88, 0x3b9c, v111
	v_fmac_f16_e32 v81, 0xbb9c, v97
	v_add_f16_e32 v102, v102, v104
	v_sub_f16_e32 v104, v98, v15
	v_fma_f16 v11, -0.5, v11, v117
	v_fmac_f16_e32 v117, -0.5, v42
	v_sub_f16_e32 v42, v115, v105
	v_sub_f16_e32 v96, v96, v67
	;; [unrolled: 1-line block ×3, first 2 shown]
	v_add_f16_e32 v15, v94, v15
	v_add_f16_e32 v13, v13, v65
	;; [unrolled: 1-line block ×6, first 2 shown]
	v_fmamk_f16 v3, v89, 0xbb9c, v66
	v_fmac_f16_e32 v66, 0x3b9c, v89
	v_fmamk_f16 v65, v90, 0xbb9c, v63
	v_fmamk_f16 v105, v114, 0x3b9c, v79
	v_fmac_f16_e32 v79, 0xbb9c, v114
	v_fmamk_f16 v109, v77, 0xbb9c, v4
	v_fmac_f16_e32 v4, 0x3b9c, v77
	v_fmac_f16_e32 v76, 0x38b4, v111
	v_sub_f16_e32 v113, v113, v108
	v_add_f16_e32 v12, v55, v12
	v_add_f16_e32 v7, v58, v68
	v_fmamk_f16 v55, v107, 0x3b9c, v51
	v_fmac_f16_e32 v51, 0xbb9c, v107
	v_fmamk_f16 v68, v116, 0x3b9c, v95
	v_fmac_f16_e32 v95, 0xbb9c, v116
	v_fmac_f16_e32 v80, 0x38b4, v97
	v_fmac_f16_e32 v88, 0xb8b4, v97
	v_sub_f16_e32 v5, v5, v8
	v_fmac_f16_e32 v63, 0x3b9c, v90
	v_fmamk_f16 v93, v61, 0x3b9c, v52
	v_fmac_f16_e32 v52, 0xbb9c, v61
	v_fmac_f16_e32 v81, 0xb8b4, v111
	v_fmamk_f16 v58, v96, 0x3b9c, v56
	v_fmac_f16_e32 v56, 0xbb9c, v96
	v_fmamk_f16 v62, v104, 0xbb9c, v75
	;; [unrolled: 2-line block ×4, first 2 shown]
	v_fmac_f16_e32 v117, 0xbb9c, v84
	v_add_f16_e32 v15, v15, v67
	v_fmac_f16_e32 v3, 0xb8b4, v107
	v_fmac_f16_e32 v66, 0x38b4, v107
	v_add_f16_e32 v13, v13, v103
	v_fmac_f16_e32 v65, 0xb8b4, v116
	v_add_f16_e32 v2, v2, v8
	v_add_f16_e32 v1, v1, v9
	v_fmac_f16_e32 v105, 0x38b4, v77
	v_fmac_f16_e32 v79, 0xb8b4, v77
	;; [unrolled: 1-line block ×5, first 2 shown]
	v_fmamk_f16 v94, v113, 0x3b9c, v106
	v_fmac_f16_e32 v106, 0xbb9c, v113
	v_fmac_f16_e32 v55, 0xb8b4, v89
	;; [unrolled: 1-line block ×3, first 2 shown]
	v_add_f16_e32 v12, v12, v53
	v_fmac_f16_e32 v68, 0xb8b4, v90
	v_fmac_f16_e32 v95, 0x38b4, v90
	v_add_f16_e32 v0, v14, v0
	v_fmac_f16_e32 v80, 0x34f2, v86
	v_fmac_f16_e32 v88, 0x34f2, v86
	v_fmamk_f16 v85, v5, 0xbb9c, v91
	v_fmac_f16_e32 v91, 0x3b9c, v5
	v_fmac_f16_e32 v63, 0x38b4, v116
	v_add_f16_e32 v14, v54, v108
	v_fmac_f16_e32 v93, 0xb8b4, v5
	v_fmac_f16_e32 v52, 0x38b4, v5
	v_add_f16_e32 v5, v7, v70
	v_fmac_f16_e32 v81, 0x34f2, v83
	v_fmamk_f16 v98, v42, 0xbb9c, v82
	v_fmac_f16_e32 v82, 0x3b9c, v42
	v_fmac_f16_e32 v58, 0x38b4, v104
	;; [unrolled: 1-line block ×12, first 2 shown]
	v_add_f16_e32 v6, v15, v13
	v_sub_f16_e32 v8, v15, v13
	v_fmac_f16_e32 v105, 0x34f2, v69
	v_fmac_f16_e32 v79, 0x34f2, v69
	v_fmac_f16_e32 v109, 0x34f2, v87
	v_fmac_f16_e32 v4, 0x34f2, v87
	v_add_f16_e32 v10, v2, v1
	v_sub_f16_e32 v1, v2, v1
	v_mul_f16_e32 v2, 0xb8b4, v76
	v_mul_f16_e32 v15, 0x3a79, v76
	v_fmac_f16_e32 v94, 0x38b4, v42
	v_fmac_f16_e32 v106, 0xb8b4, v42
	;; [unrolled: 1-line block ×6, first 2 shown]
	v_add_f16_e32 v7, v12, v0
	v_sub_f16_e32 v0, v12, v0
	v_mul_f16_e32 v12, 0xbb9c, v80
	v_mul_f16_e32 v13, 0xbb9c, v88
	;; [unrolled: 1-line block ×4, first 2 shown]
	v_fmac_f16_e32 v63, 0x34f2, v64
	v_add_f16_e32 v9, v14, v5
	v_sub_f16_e32 v5, v14, v5
	v_mul_f16_e32 v14, 0xb8b4, v81
	v_mul_f16_e32 v53, 0xba79, v81
	v_fmac_f16_e32 v85, 0xb8b4, v61
	v_fmac_f16_e32 v91, 0x38b4, v61
	;; [unrolled: 1-line block ×12, first 2 shown]
	v_mul_f16_e32 v54, 0xb8b4, v105
	v_mul_f16_e32 v57, 0xbb9c, v109
	;; [unrolled: 1-line block ×8, first 2 shown]
	v_fmac_f16_e32 v2, 0x3a79, v65
	v_fmac_f16_e32 v15, 0x38b4, v65
	;; [unrolled: 1-line block ×16, first 2 shown]
	v_pack_b32_f16 v1, v5, v1
	v_fmac_f16_e32 v54, 0x3a79, v100
	v_fmac_f16_e32 v57, 0x34f2, v101
	;; [unrolled: 1-line block ×8, first 2 shown]
	v_add_f16_e32 v5, v3, v2
	v_add_f16_e32 v11, v58, v15
	v_pack_b32_f16 v6, v6, v7
	v_pack_b32_f16 v0, v8, v0
	;; [unrolled: 1-line block ×3, first 2 shown]
	v_add_f16_e32 v8, v55, v12
	v_add_f16_e32 v9, v51, v13
	;; [unrolled: 1-line block ×6, first 2 shown]
	v_sub_f16_e32 v2, v3, v2
	v_sub_f16_e32 v3, v55, v12
	;; [unrolled: 1-line block ×8, first 2 shown]
	v_add_f16_e32 v51, v85, v54
	v_add_f16_e32 v53, v93, v57
	;; [unrolled: 1-line block ×8, first 2 shown]
	v_sub_f16_e32 v54, v85, v54
	v_sub_f16_e32 v57, v93, v57
	;; [unrolled: 1-line block ×8, first 2 shown]
	v_pack_b32_f16 v5, v5, v11
	v_pack_b32_f16 v8, v8, v63
	;; [unrolled: 1-line block ×16, first 2 shown]
	ds_store_2addr_b32 v74, v6, v5 offset1:10
	ds_store_2addr_b32 v74, v8, v9 offset0:20 offset1:30
	ds_store_2addr_b32 v74, v10, v0 offset0:40 offset1:50
	;; [unrolled: 1-line block ×4, first 2 shown]
	ds_store_2addr_b32 v71, v7, v13 offset1:10
	ds_store_2addr_b32 v71, v14, v15 offset0:20 offset1:30
	ds_store_2addr_b32 v71, v41, v1 offset0:40 offset1:50
	;; [unrolled: 1-line block ×4, first 2 shown]
	v_lshlrev_b32_e32 v0, 2, v72
	v_mul_u32_u24_e32 v1, 3, v47
	s_waitcnt lgkmcnt(0)
	s_barrier
	buffer_gl0_inv
	global_load_b96 v[12:14], v[49:50], off offset:360
	v_lshlrev_b32_e32 v2, 2, v73
	s_clause 0x1
	global_load_b96 v[9:11], v48, s[4:5] offset:360
	global_load_b96 v[6:8], v0, s[4:5] offset:360
	v_lshlrev_b32_e32 v0, 2, v1
	s_clause 0x1
	global_load_b96 v[3:5], v2, s[4:5] offset:360
	global_load_b96 v[0:2], v0, s[4:5] offset:360
	v_add_nc_u32_e32 v15, 0xffffffb0, v16
	v_cndmask_b32_e64 v48, 0, 0x640, s0
	v_cmp_gt_u32_e64 s0, 0x50, v16
	v_mul_u32_u24_e32 v49, 0x640, v45
	v_mul_u32_u24_e32 v51, 0x640, v46
	v_lshlrev_b32_e32 v50, 2, v36
	v_lshlrev_b32_e32 v52, 2, v47
	v_cndmask_b32_e64 v15, v15, v43, s0
	v_lshlrev_b32_e32 v43, 2, v44
	v_mul_u32_u24_e32 v44, 3, v16
	v_mov_b32_e32 v42, v17
	v_add3_u32 v40, 0, v49, v40
	v_add3_u32 v64, 0, v51, v52
	v_add3_u32 v59, 0, v48, v43
	v_mul_u32_u24_e32 v48, 0x640, v38
	v_lshlrev_b32_e32 v38, 2, v39
	v_lshlrev_b32_e32 v60, 2, v44
	v_mul_i32_i24_e32 v41, 3, v15
	v_add_nc_u32_e32 v61, 0x200, v59
	v_add3_u32 v63, 0, v48, v50
	v_add3_u32 v62, 0, v37, v38
	ds_load_2addr_b32 v[36:37], v34 offset0:64 offset1:224
	ds_load_2addr_b32 v[38:39], v31 offset1:160
	ds_load_2addr_b32 v[43:44], v32 offset0:64 offset1:224
	ds_load_2addr_b32 v[45:46], v29 offset1:160
	ds_load_2addr_b32 v[47:48], v28 offset1:160
	ds_load_2addr_b32 v[49:50], v35 offset0:64 offset1:224
	ds_load_2addr_b32 v[51:52], v33 offset0:64 offset1:224
	ds_load_2addr_b32 v[53:54], v27 offset1:160
	ds_load_2addr_b32 v[55:56], v26 offset1:160
	ds_load_2addr_b32 v[57:58], v30 offset0:64 offset1:224
	v_lshlrev_b64 v[41:42], 2, v[41:42]
	s_waitcnt vmcnt(0) lgkmcnt(0)
	s_barrier
	buffer_gl0_inv
	v_add_nc_u32_e32 v65, 0x200, v62
	v_add_nc_u32_e32 v66, 0x200, v63
	;; [unrolled: 1-line block ×4, first 2 shown]
	v_lshlrev_b32_e32 v15, 2, v15
	v_lshrrev_b32_e32 v80, 16, v36
	v_lshrrev_b32_e32 v69, 16, v37
	;; [unrolled: 1-line block ×35, first 2 shown]
	v_mul_f16_e32 v104, v89, v54
	v_mul_f16_e32 v105, v90, v36
	;; [unrolled: 1-line block ×28, first 2 shown]
	v_fma_f16 v79, v12, v79, -v104
	v_mul_f16_e32 v104, v83, v103
	v_mul_f16_e32 v103, v50, v103
	v_fma_f16 v80, v13, v80, -v105
	v_fma_f16 v81, v14, v81, -v106
	v_fmac_f16_e32 v89, v12, v54
	v_fmac_f16_e32 v90, v13, v36
	;; [unrolled: 1-line block ×4, first 2 shown]
	v_fma_f16 v12, v9, v82, -v108
	v_fma_f16 v10, v69, v10, -v92
	;; [unrolled: 1-line block ×3, first 2 shown]
	v_fmac_f16_e32 v93, v9, v43
	v_fmac_f16_e32 v94, v38, v11
	;; [unrolled: 1-line block ×4, first 2 shown]
	v_fma_f16 v6, v71, v6, -v95
	v_fma_f16 v9, v72, v7, -v112
	;; [unrolled: 1-line block ×3, first 2 shown]
	v_fmac_f16_e32 v97, v45, v7
	v_fmac_f16_e32 v113, v46, v4
	v_fma_f16 v7, v74, v3, -v114
	v_fma_f16 v4, v75, v4, -v98
	;; [unrolled: 1-line block ×3, first 2 shown]
	v_fmac_f16_e32 v99, v47, v3
	v_fmac_f16_e32 v100, v49, v5
	;; [unrolled: 1-line block ×3, first 2 shown]
	v_fma_f16 v0, v77, v0, -v101
	v_fmac_f16_e32 v117, v51, v1
	v_fma_f16 v1, v78, v1, -v102
	v_fmac_f16_e32 v104, v50, v2
	v_fma_f16 v2, v83, v2, -v103
	v_sub_f16_e32 v3, v55, v90
	v_sub_f16_e32 v5, v84, v80
	;; [unrolled: 1-line block ×20, first 2 shown]
	v_fma_f16 v48, v55, 2.0, -v3
	v_fma_f16 v49, v84, 2.0, -v5
	;; [unrolled: 1-line block ×4, first 2 shown]
	v_add_f16_e32 v36, v3, v36
	v_sub_f16_e32 v14, v5, v14
	v_fma_f16 v52, v56, 2.0, -v37
	v_fma_f16 v54, v85, 2.0, -v10
	;; [unrolled: 1-line block ×8, first 2 shown]
	v_add_f16_e32 v13, v37, v13
	v_sub_f16_e32 v38, v10, v38
	v_fma_f16 v58, v58, 2.0, -v44
	v_fma_f16 v70, v87, 2.0, -v4
	;; [unrolled: 1-line block ×8, first 2 shown]
	v_sub_f16_e32 v50, v48, v50
	v_sub_f16_e32 v51, v49, v51
	v_add_f16_e32 v8, v39, v8
	v_sub_f16_e32 v43, v9, v43
	v_add_f16_e32 v11, v44, v11
	v_sub_f16_e32 v45, v4, v45
	v_fma_f16 v3, v3, 2.0, -v36
	v_fma_f16 v5, v5, 2.0, -v14
	v_sub_f16_e32 v55, v52, v55
	v_sub_f16_e32 v12, v54, v12
	v_add_f16_e32 v2, v46, v2
	v_sub_f16_e32 v47, v1, v47
	v_sub_f16_e32 v69, v56, v69
	;; [unrolled: 1-line block ×3, first 2 shown]
	v_fma_f16 v37, v37, 2.0, -v13
	v_fma_f16 v10, v10, 2.0, -v38
	v_sub_f16_e32 v71, v58, v71
	v_sub_f16_e32 v7, v70, v7
	;; [unrolled: 1-line block ×4, first 2 shown]
	v_pack_b32_f16 v14, v36, v14
	v_pack_b32_f16 v13, v13, v38
	v_fma_f16 v36, v48, 2.0, -v50
	v_fma_f16 v38, v49, 2.0, -v51
	;; [unrolled: 1-line block ×6, first 2 shown]
	v_pack_b32_f16 v8, v8, v43
	v_pack_b32_f16 v11, v11, v45
	v_fma_f16 v43, v52, 2.0, -v55
	v_fma_f16 v45, v54, 2.0, -v12
	v_pack_b32_f16 v3, v3, v5
	v_pack_b32_f16 v5, v50, v51
	v_fma_f16 v46, v46, 2.0, -v2
	v_fma_f16 v1, v1, 2.0, -v47
	v_pack_b32_f16 v2, v2, v47
	v_fma_f16 v47, v56, 2.0, -v69
	v_fma_f16 v48, v57, 2.0, -v6
	;; [unrolled: 1-line block ×6, first 2 shown]
	v_pack_b32_f16 v36, v36, v38
	v_pack_b32_f16 v10, v37, v10
	ds_store_2addr_b32 v61, v5, v14 offset0:72 offset1:172
	v_pack_b32_f16 v5, v43, v45
	v_pack_b32_f16 v12, v55, v12
	;; [unrolled: 1-line block ×11, first 2 shown]
	ds_store_2addr_b32 v59, v36, v3 offset1:100
	ds_store_2addr_b32 v62, v5, v10 offset1:100
	ds_store_2addr_b32 v65, v12, v13 offset0:72 offset1:172
	ds_store_2addr_b32 v63, v14, v9 offset1:100
	ds_store_2addr_b32 v66, v6, v8 offset0:72 offset1:172
	;; [unrolled: 2-line block ×4, first 2 shown]
	v_add_co_u32 v6, s0, s4, v41
	s_delay_alu instid0(VALU_DEP_1)
	v_add_co_ci_u32_e64 v7, s0, s5, v42, s0
	s_waitcnt lgkmcnt(0)
	s_barrier
	buffer_gl0_inv
	s_clause 0x1
	global_load_b96 v[0:2], v60, s[4:5] offset:1560
	global_load_b96 v[3:5], v60, s[4:5] offset:3480
	v_add_nc_u32_e32 v9, 0x3c0, v60
	global_load_b96 v[6:8], v[6:7], off offset:1560
	v_add_nc_u32_e32 v12, 0xb40, v60
	s_clause 0x1
	global_load_b96 v[9:11], v9, s[4:5] offset:1560
	global_load_b96 v[12:14], v12, s[4:5] offset:1560
	v_add_co_u32 v20, s0, s4, v20
	s_delay_alu instid0(VALU_DEP_1)
	v_add_co_ci_u32_e64 v21, s0, s5, v21, s0
	v_cmp_lt_u32_e64 s0, 0x4f, v16
	v_add_nc_u32_e32 v60, 0x1200, v26
	v_add_nc_u32_e32 v58, 0x600, v26
	;; [unrolled: 1-line block ×4, first 2 shown]
	v_cndmask_b32_e64 v36, 0, 0x1900, s0
	v_add_co_u32 v20, s0, 0x1000, v20
	s_delay_alu instid0(VALU_DEP_1) | instskip(SKIP_1) | instid1(VALU_DEP_1)
	v_add_co_ci_u32_e64 v21, s0, 0, v21, s0
	v_add_co_u32 v46, s0, s4, v22
	v_add_co_ci_u32_e64 v47, s0, s5, v23, s0
	v_add3_u32 v15, 0, v36, v15
	s_delay_alu instid0(VALU_DEP_3) | instskip(NEXT) | instid1(VALU_DEP_1)
	v_add_co_u32 v22, s0, 0x2000, v46
	v_add_co_ci_u32_e64 v23, s0, 0, v47, s0
	v_add_co_u32 v52, s0, s4, v24
	s_delay_alu instid0(VALU_DEP_1)
	v_add_co_ci_u32_e64 v53, s0, s5, v25, s0
	ds_load_2addr_b32 v[24:25], v34 offset0:64 offset1:224
	ds_load_2addr_b32 v[36:37], v32 offset0:64 offset1:224
	ds_load_2addr_b32 v[38:39], v31 offset1:160
	ds_load_2addr_b32 v[40:41], v29 offset1:160
	;; [unrolled: 1-line block ×3, first 2 shown]
	ds_load_2addr_b32 v[44:45], v35 offset0:64 offset1:224
	ds_load_2addr_b32 v[48:49], v33 offset0:64 offset1:224
	ds_load_2addr_b32 v[50:51], v27 offset1:160
	ds_load_2addr_b32 v[54:55], v26 offset1:160
	ds_load_2addr_b32 v[56:57], v30 offset0:64 offset1:224
	v_add_co_u32 v46, s0, 0x1000, v46
	s_delay_alu instid0(VALU_DEP_1)
	v_add_co_ci_u32_e64 v47, s0, 0, v47, s0
	v_add_co_u32 v52, s0, 0x1000, v52
	s_waitcnt vmcnt(0) lgkmcnt(0)
	s_barrier
	buffer_gl0_inv
	v_add_co_ci_u32_e64 v53, s0, 0, v53, s0
	v_add_nc_u32_e32 v62, 0x2000, v26
	v_lshrrev_b32_e32 v64, 16, v25
	v_lshrrev_b32_e32 v76, 16, v24
	;; [unrolled: 1-line block ×20, first 2 shown]
	v_add_nc_u32_e32 v63, 0x2600, v26
	v_lshrrev_b32_e32 v84, 16, v0
	v_lshrrev_b32_e32 v85, 16, v1
	v_lshrrev_b32_e32 v86, 16, v2
	v_lshrrev_b32_e32 v87, 16, v4
	v_lshrrev_b32_e32 v88, 16, v3
	v_lshrrev_b32_e32 v89, 16, v5
	v_lshrrev_b32_e32 v90, 16, v6
	v_lshrrev_b32_e32 v91, 16, v8
	v_lshrrev_b32_e32 v92, 16, v7
	v_lshrrev_b32_e32 v93, 16, v9
	v_lshrrev_b32_e32 v94, 16, v10
	v_lshrrev_b32_e32 v95, 16, v11
	v_lshrrev_b32_e32 v96, 16, v12
	v_lshrrev_b32_e32 v97, 16, v13
	v_lshrrev_b32_e32 v98, 16, v14
	v_mul_f16_e32 v99, v84, v51
	v_mul_f16_e32 v100, v85, v24
	;; [unrolled: 1-line block ×30, first 2 shown]
	v_fma_f16 v75, v0, v75, -v99
	v_fma_f16 v76, v1, v76, -v100
	;; [unrolled: 1-line block ×3, first 2 shown]
	v_fmac_f16_e32 v84, v0, v51
	v_fmac_f16_e32 v85, v1, v24
	;; [unrolled: 1-line block ×4, first 2 shown]
	v_fma_f16 v0, v3, v78, -v103
	v_fma_f16 v1, v64, v4, -v87
	;; [unrolled: 1-line block ×3, first 2 shown]
	v_fmac_f16_e32 v88, v3, v36
	v_fmac_f16_e32 v89, v38, v5
	;; [unrolled: 1-line block ×4, first 2 shown]
	v_fma_f16 v3, v66, v6, -v90
	v_fma_f16 v4, v67, v7, -v107
	;; [unrolled: 1-line block ×3, first 2 shown]
	v_fmac_f16_e32 v92, v40, v7
	v_fmac_f16_e32 v109, v41, v10
	v_fma_f16 v6, v69, v9, -v93
	v_fmac_f16_e32 v108, v42, v9
	v_fma_f16 v7, v70, v10, -v94
	;; [unrolled: 2-line block ×6, first 2 shown]
	v_sub_f16_e32 v12, v54, v85
	v_sub_f16_e32 v13, v79, v76
	;; [unrolled: 1-line block ×20, first 2 shown]
	v_fma_f16 v43, v54, 2.0, -v12
	v_fma_f16 v44, v79, 2.0, -v13
	;; [unrolled: 1-line block ×8, first 2 shown]
	v_add_f16_e32 v24, v12, v24
	v_sub_f16_e32 v14, v13, v14
	v_add_f16_e32 v2, v25, v2
	v_sub_f16_e32 v36, v1, v36
	v_fma_f16 v55, v56, 2.0, -v37
	v_fma_f16 v56, v81, 2.0, -v4
	v_fma_f16 v64, v105, 2.0, -v38
	v_fma_f16 v3, v3, 2.0, -v5
	v_add_f16_e32 v5, v37, v5
	v_sub_f16_e32 v38, v4, v38
	v_fma_f16 v57, v57, 2.0, -v39
	v_fma_f16 v65, v82, 2.0, -v7
	v_fma_f16 v66, v108, 2.0, -v40
	v_fma_f16 v6, v6, 2.0, -v8
	;; [unrolled: 6-line block ×3, first 2 shown]
	v_add_f16_e32 v11, v41, v11
	v_sub_f16_e32 v42, v10, v42
	v_sub_f16_e32 v45, v43, v45
	;; [unrolled: 1-line block ×5, first 2 shown]
	v_fma_f16 v12, v12, 2.0, -v24
	v_fma_f16 v13, v13, 2.0, -v14
	;; [unrolled: 1-line block ×4, first 2 shown]
	v_sub_f16_e32 v64, v55, v64
	v_sub_f16_e32 v3, v56, v3
	v_fma_f16 v37, v37, 2.0, -v5
	v_fma_f16 v4, v4, 2.0, -v38
	v_sub_f16_e32 v66, v57, v66
	v_sub_f16_e32 v6, v65, v6
	v_fma_f16 v39, v39, 2.0, -v8
	v_fma_f16 v7, v7, 2.0, -v40
	;; [unrolled: 4-line block ×3, first 2 shown]
	v_pack_b32_f16 v14, v24, v14
	v_pack_b32_f16 v2, v2, v36
	;; [unrolled: 1-line block ×4, first 2 shown]
	v_fma_f16 v24, v43, 2.0, -v45
	v_fma_f16 v36, v44, 2.0, -v48
	;; [unrolled: 1-line block ×4, first 2 shown]
	v_pack_b32_f16 v11, v11, v42
	v_fma_f16 v42, v55, 2.0, -v64
	v_fma_f16 v43, v56, 2.0, -v3
	v_pack_b32_f16 v12, v12, v13
	v_pack_b32_f16 v1, v25, v1
	v_fma_f16 v44, v57, 2.0, -v66
	v_fma_f16 v49, v65, 2.0, -v6
	;; [unrolled: 1-line block ×4, first 2 shown]
	v_pack_b32_f16 v13, v45, v48
	v_pack_b32_f16 v0, v54, v0
	ds_store_2addr_b32 v60, v14, v2 offset0:48 offset1:208
	v_pack_b32_f16 v2, v37, v4
	v_pack_b32_f16 v4, v39, v7
	;; [unrolled: 1-line block ×5, first 2 shown]
	ds_store_2addr_b32 v58, v12, v1 offset0:16 offset1:176
	v_pack_b32_f16 v1, v42, v43
	v_pack_b32_f16 v3, v64, v3
	v_pack_b32_f16 v6, v66, v6
	v_pack_b32_f16 v9, v68, v9
	ds_store_2addr_b32 v59, v13, v0 offset0:32 offset1:192
	v_pack_b32_f16 v0, v44, v49
	v_pack_b32_f16 v12, v50, v51
	ds_store_2addr_b32 v26, v10, v14 offset1:160
	ds_store_b32 v15, v1
	ds_store_b32 v15, v2 offset:1600
	ds_store_b32 v15, v3 offset:3200
	;; [unrolled: 1-line block ×3, first 2 shown]
	ds_store_2addr_b32 v61, v0, v12 offset0:16 offset1:176
	ds_store_2addr_b32 v62, v4, v7 offset0:32 offset1:192
	;; [unrolled: 1-line block ×4, first 2 shown]
	s_waitcnt lgkmcnt(0)
	s_barrier
	buffer_gl0_inv
	s_clause 0x9
	global_load_b32 v24, v[20:21], off offset:2264
	global_load_b32 v25, v[52:53], off offset:2264
	;; [unrolled: 1-line block ×10, first 2 shown]
	ds_load_2addr_b32 v[0:1], v28 offset1:160
	ds_load_2addr_b32 v[2:3], v35 offset0:64 offset1:224
	ds_load_2addr_b32 v[4:5], v34 offset0:64 offset1:224
	ds_load_2addr_b32 v[6:7], v29 offset1:160
	ds_load_2addr_b32 v[8:9], v33 offset0:64 offset1:224
	ds_load_2addr_b32 v[10:11], v31 offset1:160
	ds_load_2addr_b32 v[12:13], v26 offset1:160
	ds_load_2addr_b32 v[14:15], v30 offset0:64 offset1:224
	ds_load_2addr_b32 v[20:21], v27 offset1:160
	ds_load_2addr_b32 v[22:23], v32 offset0:64 offset1:224
	s_waitcnt vmcnt(0) lgkmcnt(0)
	s_barrier
	buffer_gl0_inv
	v_lshrrev_b32_e32 v44, 16, v0
	v_lshrrev_b32_e32 v45, 16, v2
	;; [unrolled: 1-line block ×4, first 2 shown]
	v_pk_mul_f16 v50, v24, v4 op_sel:[0,1]
	v_lshrrev_b32_e32 v48, 16, v25
	v_lshrrev_b32_e32 v49, 16, v36
	v_pk_mul_f16 v51, v37, v5 op_sel:[0,1]
	v_pk_mul_f16 v52, v38, v6 op_sel:[0,1]
	;; [unrolled: 1-line block ×7, first 2 shown]
	v_mul_f16_e32 v58, v45, v48
	v_mul_f16_e32 v48, v2, v48
	;; [unrolled: 1-line block ×4, first 2 shown]
	v_pk_fma_f16 v60, v24, v4, v50 op_sel:[0,0,1] op_sel_hi:[1,1,0]
	v_pk_fma_f16 v4, v24, v4, v50 op_sel:[0,0,1] op_sel_hi:[1,0,0] neg_lo:[1,0,0] neg_hi:[1,0,0]
	v_pk_fma_f16 v24, v37, v5, v51 op_sel:[0,0,1] op_sel_hi:[1,1,0]
	v_pk_fma_f16 v5, v37, v5, v51 op_sel:[0,0,1] op_sel_hi:[1,0,0] neg_lo:[1,0,0] neg_hi:[1,0,0]
	;; [unrolled: 2-line block ×8, first 2 shown]
	v_fmac_f16_e32 v58, v2, v25
	v_fma_f16 v2, v45, v25, -v48
	v_fmac_f16_e32 v59, v3, v36
	v_fma_f16 v3, v47, v36, -v49
	v_bfi_b32 v4, 0xffff, v60, v4
	v_bfi_b32 v5, 0xffff, v24, v5
	;; [unrolled: 1-line block ×8, first 2 shown]
	v_sub_f16_e32 v24, v0, v58
	v_sub_f16_e32 v2, v44, v2
	;; [unrolled: 1-line block ×4, first 2 shown]
	v_pk_add_f16 v4, v12, v4 neg_lo:[0,1] neg_hi:[0,1]
	v_pk_add_f16 v5, v13, v5 neg_lo:[0,1] neg_hi:[0,1]
	;; [unrolled: 1-line block ×8, first 2 shown]
	v_fma_f16 v0, v0, 2.0, -v24
	v_fma_f16 v36, v44, 2.0, -v2
	;; [unrolled: 1-line block ×4, first 2 shown]
	v_pk_fma_f16 v12, v12, 2.0, v4 op_sel_hi:[1,0,1] neg_lo:[0,0,1] neg_hi:[0,0,1]
	v_pk_fma_f16 v13, v13, 2.0, v5 op_sel_hi:[1,0,1] neg_lo:[0,0,1] neg_hi:[0,0,1]
	;; [unrolled: 1-line block ×8, first 2 shown]
	v_pack_b32_f16 v2, v24, v2
	v_pack_b32_f16 v3, v25, v3
	;; [unrolled: 1-line block ×4, first 2 shown]
	ds_store_2addr_b32 v34, v4, v5 offset0:64 offset1:224
	ds_store_2addr_b32 v29, v6, v7 offset1:160
	ds_store_2addr_b32 v33, v8, v9 offset0:64 offset1:224
	ds_store_2addr_b32 v31, v10, v11 offset1:160
	ds_store_2addr_b32 v26, v12, v13 offset1:160
	ds_store_2addr_b32 v30, v14, v15 offset0:64 offset1:224
	ds_store_2addr_b32 v27, v20, v21 offset1:160
	ds_store_2addr_b32 v32, v22, v23 offset0:64 offset1:224
	ds_store_2addr_b32 v35, v2, v3 offset0:64 offset1:224
	ds_store_2addr_b32 v28, v0, v1 offset1:160
	s_waitcnt lgkmcnt(0)
	s_barrier
	buffer_gl0_inv
	s_and_saveexec_b32 s0, vcc_lo
	s_cbranch_execz .LBB0_19
; %bb.18:
	v_dual_mov_b32 v5, v17 :: v_dual_add_nc_u32 v4, 0xa0, v16
	v_lshl_add_u32 v34, v16, 2, 0
	v_lshlrev_b64 v[2:3], 2, v[16:17]
	v_add_co_u32 v36, vcc_lo, s8, v18
	v_dual_mov_b32 v7, v17 :: v_dual_add_nc_u32 v6, 0x140, v16
	v_add_co_ci_u32_e32 v37, vcc_lo, s9, v19, vcc_lo
	v_lshlrev_b64 v[4:5], 2, v[4:5]
	v_dual_mov_b32 v9, v17 :: v_dual_add_nc_u32 v10, 0x400, v34
	v_dual_mov_b32 v13, v17 :: v_dual_add_nc_u32 v8, 0x1e0, v16
	v_add_co_u32 v2, vcc_lo, v36, v2
	v_lshlrev_b64 v[6:7], 2, v[6:7]
	v_dual_mov_b32 v19, v17 :: v_dual_add_nc_u32 v12, 0x280, v16
	v_add_co_ci_u32_e32 v3, vcc_lo, v37, v3, vcc_lo
	v_dual_mov_b32 v21, v17 :: v_dual_add_nc_u32 v14, 0xa00, v34
	ds_load_2addr_b32 v[0:1], v34 offset1:160
	v_add_co_u32 v4, vcc_lo, v36, v4
	v_lshlrev_b64 v[8:9], 2, v[8:9]
	v_dual_mov_b32 v23, v17 :: v_dual_add_nc_u32 v18, 0x320, v16
	v_dual_mov_b32 v29, v17 :: v_dual_add_nc_u32 v24, 0xe00, v34
	v_add_co_ci_u32_e32 v5, vcc_lo, v37, v5, vcc_lo
	ds_load_2addr_b32 v[10:11], v10 offset0:64 offset1:224
	v_add_co_u32 v6, vcc_lo, v36, v6
	v_lshlrev_b64 v[12:13], 2, v[12:13]
	ds_load_2addr_b32 v[14:15], v14 offset1:160
	v_dual_mov_b32 v27, v17 :: v_dual_add_nc_u32 v20, 0x3c0, v16
	v_add_co_ci_u32_e32 v7, vcc_lo, v37, v7, vcc_lo
	v_add_co_u32 v8, vcc_lo, v36, v8
	v_lshlrev_b64 v[18:19], 2, v[18:19]
	ds_load_2addr_b32 v[24:25], v24 offset0:64 offset1:224
	v_add_nc_u32_e32 v22, 0x460, v16
	v_add_co_ci_u32_e32 v9, vcc_lo, v37, v9, vcc_lo
	v_add_co_u32 v12, vcc_lo, v36, v12
	v_lshlrev_b64 v[20:21], 2, v[20:21]
	v_add_co_ci_u32_e32 v13, vcc_lo, v37, v13, vcc_lo
	v_add_co_u32 v18, vcc_lo, v36, v18
	v_lshlrev_b64 v[22:23], 2, v[22:23]
	v_add_co_ci_u32_e32 v19, vcc_lo, v37, v19, vcc_lo
	v_add_co_u32 v20, vcc_lo, v36, v20
	v_add_nc_u32_e32 v26, 0x500, v16
	v_add_co_ci_u32_e32 v21, vcc_lo, v37, v21, vcc_lo
	v_add_co_u32 v22, vcc_lo, v36, v22
	v_add_nc_u32_e32 v28, 0x5a0, v16
	v_add_co_ci_u32_e32 v23, vcc_lo, v37, v23, vcc_lo
	s_waitcnt lgkmcnt(3)
	s_clause 0x1
	global_store_b32 v[2:3], v0, off
	global_store_b32 v[4:5], v1, off
	s_waitcnt lgkmcnt(2)
	s_clause 0x1
	global_store_b32 v[6:7], v10, off
	global_store_b32 v[8:9], v11, off
	;; [unrolled: 4-line block ×4, first 2 shown]
	v_mov_b32_e32 v15, v17
	v_mov_b32_e32 v11, v17
	v_lshlrev_b64 v[0:1], 2, v[26:27]
	v_dual_mov_b32 v21, v17 :: v_dual_add_nc_u32 v6, 0x640, v16
	v_mov_b32_e32 v7, v17
	v_lshlrev_b64 v[4:5], 2, v[28:29]
	v_dual_mov_b32 v33, v17 :: v_dual_add_nc_u32 v10, 0x6e0, v16
	v_add_co_u32 v0, vcc_lo, v36, v0
	s_delay_alu instid0(VALU_DEP_4)
	v_lshlrev_b64 v[6:7], 2, v[6:7]
	v_dual_mov_b32 v13, v17 :: v_dual_add_nc_u32 v30, 0x1400, v34
	v_add_nc_u32_e32 v12, 0x780, v16
	v_add_co_ci_u32_e32 v1, vcc_lo, v37, v1, vcc_lo
	v_add_co_u32 v4, vcc_lo, v36, v4
	v_lshlrev_b64 v[10:11], 2, v[10:11]
	v_add_nc_u32_e32 v14, 0x820, v16
	v_add_co_ci_u32_e32 v5, vcc_lo, v37, v5, vcc_lo
	v_add_co_u32 v6, vcc_lo, v36, v6
	v_lshlrev_b64 v[12:13], 2, v[12:13]
	;; [unrolled: 4-line block ×3, first 2 shown]
	v_dual_mov_b32 v25, v17 :: v_dual_add_nc_u32 v8, 0x1800, v34
	v_add_nc_u32_e32 v24, 0x960, v16
	v_add_co_ci_u32_e32 v11, vcc_lo, v37, v11, vcc_lo
	v_add_co_u32 v12, vcc_lo, v36, v12
	v_lshlrev_b64 v[20:21], 2, v[20:21]
	v_add_nc_u32_e32 v26, 0xa00, v16
	v_add_nc_u32_e32 v18, 0x1e00, v34
	v_add_co_ci_u32_e32 v13, vcc_lo, v37, v13, vcc_lo
	ds_load_2addr_b32 v[2:3], v30 offset1:160
	v_add_co_u32 v14, vcc_lo, v36, v14
	v_lshlrev_b64 v[24:25], 2, v[24:25]
	v_add_nc_u32_e32 v22, 0x2200, v34
	v_add_nc_u32_e32 v28, 0xaa0, v16
	ds_load_2addr_b32 v[8:9], v8 offset0:64 offset1:224
	v_add_co_ci_u32_e32 v15, vcc_lo, v37, v15, vcc_lo
	v_add_co_u32 v20, vcc_lo, v36, v20
	v_add_nc_u32_e32 v30, 0x2800, v34
	v_lshlrev_b64 v[26:27], 2, v[26:27]
	ds_load_2addr_b32 v[18:19], v18 offset1:160
	v_add_nc_u32_e32 v32, 0xb40, v16
	v_add_co_ci_u32_e32 v21, vcc_lo, v37, v21, vcc_lo
	v_add_nc_u32_e32 v34, 0x2c00, v34
	ds_load_2addr_b32 v[22:23], v22 offset0:64 offset1:224
	v_add_co_u32 v24, vcc_lo, v36, v24
	v_lshlrev_b64 v[28:29], 2, v[28:29]
	v_add_nc_u32_e32 v16, 0xbe0, v16
	v_add_co_ci_u32_e32 v25, vcc_lo, v37, v25, vcc_lo
	ds_load_2addr_b32 v[30:31], v30 offset1:160
	v_add_co_u32 v26, vcc_lo, v36, v26
	v_lshlrev_b64 v[32:33], 2, v[32:33]
	ds_load_2addr_b32 v[34:35], v34 offset0:64 offset1:224
	v_add_co_ci_u32_e32 v27, vcc_lo, v37, v27, vcc_lo
	v_add_co_u32 v28, vcc_lo, v36, v28
	v_lshlrev_b64 v[16:17], 2, v[16:17]
	v_add_co_ci_u32_e32 v29, vcc_lo, v37, v29, vcc_lo
	v_add_co_u32 v32, vcc_lo, v36, v32
	v_add_co_ci_u32_e32 v33, vcc_lo, v37, v33, vcc_lo
	s_delay_alu instid0(VALU_DEP_4)
	v_add_co_u32 v16, vcc_lo, v36, v16
	v_add_co_ci_u32_e32 v17, vcc_lo, v37, v17, vcc_lo
	s_waitcnt lgkmcnt(5)
	s_clause 0x1
	global_store_b32 v[0:1], v2, off
	global_store_b32 v[4:5], v3, off
	s_waitcnt lgkmcnt(4)
	s_clause 0x1
	global_store_b32 v[6:7], v8, off
	global_store_b32 v[10:11], v9, off
	;; [unrolled: 4-line block ×6, first 2 shown]
.LBB0_19:
	s_nop 0
	s_sendmsg sendmsg(MSG_DEALLOC_VGPRS)
	s_endpgm
	.section	.rodata,"a",@progbits
	.p2align	6, 0x0
	.amdhsa_kernel fft_rtc_back_len3200_factors_10_10_4_4_2_wgs_160_tpt_160_halfLds_half_ip_CI_unitstride_sbrr_C2R_dirReg
		.amdhsa_group_segment_fixed_size 0
		.amdhsa_private_segment_fixed_size 0
		.amdhsa_kernarg_size 88
		.amdhsa_user_sgpr_count 15
		.amdhsa_user_sgpr_dispatch_ptr 0
		.amdhsa_user_sgpr_queue_ptr 0
		.amdhsa_user_sgpr_kernarg_segment_ptr 1
		.amdhsa_user_sgpr_dispatch_id 0
		.amdhsa_user_sgpr_private_segment_size 0
		.amdhsa_wavefront_size32 1
		.amdhsa_uses_dynamic_stack 0
		.amdhsa_enable_private_segment 0
		.amdhsa_system_sgpr_workgroup_id_x 1
		.amdhsa_system_sgpr_workgroup_id_y 0
		.amdhsa_system_sgpr_workgroup_id_z 0
		.amdhsa_system_sgpr_workgroup_info 0
		.amdhsa_system_vgpr_workitem_id 0
		.amdhsa_next_free_vgpr 118
		.amdhsa_next_free_sgpr 21
		.amdhsa_reserve_vcc 1
		.amdhsa_float_round_mode_32 0
		.amdhsa_float_round_mode_16_64 0
		.amdhsa_float_denorm_mode_32 3
		.amdhsa_float_denorm_mode_16_64 3
		.amdhsa_dx10_clamp 1
		.amdhsa_ieee_mode 1
		.amdhsa_fp16_overflow 0
		.amdhsa_workgroup_processor_mode 1
		.amdhsa_memory_ordered 1
		.amdhsa_forward_progress 0
		.amdhsa_shared_vgpr_count 0
		.amdhsa_exception_fp_ieee_invalid_op 0
		.amdhsa_exception_fp_denorm_src 0
		.amdhsa_exception_fp_ieee_div_zero 0
		.amdhsa_exception_fp_ieee_overflow 0
		.amdhsa_exception_fp_ieee_underflow 0
		.amdhsa_exception_fp_ieee_inexact 0
		.amdhsa_exception_int_div_zero 0
	.end_amdhsa_kernel
	.text
.Lfunc_end0:
	.size	fft_rtc_back_len3200_factors_10_10_4_4_2_wgs_160_tpt_160_halfLds_half_ip_CI_unitstride_sbrr_C2R_dirReg, .Lfunc_end0-fft_rtc_back_len3200_factors_10_10_4_4_2_wgs_160_tpt_160_halfLds_half_ip_CI_unitstride_sbrr_C2R_dirReg
                                        ; -- End function
	.section	.AMDGPU.csdata,"",@progbits
; Kernel info:
; codeLenInByte = 14380
; NumSgprs: 23
; NumVgprs: 118
; ScratchSize: 0
; MemoryBound: 0
; FloatMode: 240
; IeeeMode: 1
; LDSByteSize: 0 bytes/workgroup (compile time only)
; SGPRBlocks: 2
; VGPRBlocks: 14
; NumSGPRsForWavesPerEU: 23
; NumVGPRsForWavesPerEU: 118
; Occupancy: 12
; WaveLimiterHint : 1
; COMPUTE_PGM_RSRC2:SCRATCH_EN: 0
; COMPUTE_PGM_RSRC2:USER_SGPR: 15
; COMPUTE_PGM_RSRC2:TRAP_HANDLER: 0
; COMPUTE_PGM_RSRC2:TGID_X_EN: 1
; COMPUTE_PGM_RSRC2:TGID_Y_EN: 0
; COMPUTE_PGM_RSRC2:TGID_Z_EN: 0
; COMPUTE_PGM_RSRC2:TIDIG_COMP_CNT: 0
	.text
	.p2alignl 7, 3214868480
	.fill 96, 4, 3214868480
	.type	__hip_cuid_611887b0a5f3abb0,@object ; @__hip_cuid_611887b0a5f3abb0
	.section	.bss,"aw",@nobits
	.globl	__hip_cuid_611887b0a5f3abb0
__hip_cuid_611887b0a5f3abb0:
	.byte	0                               ; 0x0
	.size	__hip_cuid_611887b0a5f3abb0, 1

	.ident	"AMD clang version 19.0.0git (https://github.com/RadeonOpenCompute/llvm-project roc-6.4.0 25133 c7fe45cf4b819c5991fe208aaa96edf142730f1d)"
	.section	".note.GNU-stack","",@progbits
	.addrsig
	.addrsig_sym __hip_cuid_611887b0a5f3abb0
	.amdgpu_metadata
---
amdhsa.kernels:
  - .args:
      - .actual_access:  read_only
        .address_space:  global
        .offset:         0
        .size:           8
        .value_kind:     global_buffer
      - .offset:         8
        .size:           8
        .value_kind:     by_value
      - .actual_access:  read_only
        .address_space:  global
        .offset:         16
        .size:           8
        .value_kind:     global_buffer
      - .actual_access:  read_only
        .address_space:  global
        .offset:         24
        .size:           8
        .value_kind:     global_buffer
      - .offset:         32
        .size:           8
        .value_kind:     by_value
      - .actual_access:  read_only
        .address_space:  global
        .offset:         40
        .size:           8
        .value_kind:     global_buffer
      - .actual_access:  read_only
        .address_space:  global
        .offset:         48
        .size:           8
        .value_kind:     global_buffer
      - .offset:         56
        .size:           4
        .value_kind:     by_value
      - .actual_access:  read_only
        .address_space:  global
        .offset:         64
        .size:           8
        .value_kind:     global_buffer
      - .actual_access:  read_only
        .address_space:  global
        .offset:         72
        .size:           8
        .value_kind:     global_buffer
      - .address_space:  global
        .offset:         80
        .size:           8
        .value_kind:     global_buffer
    .group_segment_fixed_size: 0
    .kernarg_segment_align: 8
    .kernarg_segment_size: 88
    .language:       OpenCL C
    .language_version:
      - 2
      - 0
    .max_flat_workgroup_size: 160
    .name:           fft_rtc_back_len3200_factors_10_10_4_4_2_wgs_160_tpt_160_halfLds_half_ip_CI_unitstride_sbrr_C2R_dirReg
    .private_segment_fixed_size: 0
    .sgpr_count:     23
    .sgpr_spill_count: 0
    .symbol:         fft_rtc_back_len3200_factors_10_10_4_4_2_wgs_160_tpt_160_halfLds_half_ip_CI_unitstride_sbrr_C2R_dirReg.kd
    .uniform_work_group_size: 1
    .uses_dynamic_stack: false
    .vgpr_count:     118
    .vgpr_spill_count: 0
    .wavefront_size: 32
    .workgroup_processor_mode: 1
amdhsa.target:   amdgcn-amd-amdhsa--gfx1100
amdhsa.version:
  - 1
  - 2
...

	.end_amdgpu_metadata
